;; amdgpu-corpus repo=ROCm/rocFFT kind=compiled arch=gfx906 opt=O3
	.text
	.amdgcn_target "amdgcn-amd-amdhsa--gfx906"
	.amdhsa_code_object_version 6
	.protected	bluestein_single_fwd_len2016_dim1_dp_op_CI_CI ; -- Begin function bluestein_single_fwd_len2016_dim1_dp_op_CI_CI
	.globl	bluestein_single_fwd_len2016_dim1_dp_op_CI_CI
	.p2align	8
	.type	bluestein_single_fwd_len2016_dim1_dp_op_CI_CI,@function
bluestein_single_fwd_len2016_dim1_dp_op_CI_CI: ; @bluestein_single_fwd_len2016_dim1_dp_op_CI_CI
; %bb.0:
	s_load_dwordx4 s[16:19], s[4:5], 0x28
	v_mul_u32_u24_e32 v1, 0x24a, v0
	s_mov_b64 s[30:31], s[2:3]
	v_lshrrev_b32_e32 v13, 16, v1
	s_mov_b64 s[28:29], s[0:1]
	v_lshl_add_u32 v4, s6, 1, v13
	v_mov_b32_e32 v5, 0
	s_add_u32 s28, s28, s7
	s_waitcnt lgkmcnt(0)
	v_cmp_gt_u64_e32 vcc, s[16:17], v[4:5]
	s_addc_u32 s29, s29, 0
	s_and_saveexec_b64 s[0:1], vcc
	s_cbranch_execz .LBB0_10
; %bb.1:
	s_load_dwordx4 s[8:11], s[4:5], 0x18
	s_load_dwordx4 s[12:15], s[4:5], 0x0
	v_mul_lo_u16_e32 v1, 0x70, v13
	v_sub_u16_e32 v62, v0, v1
	v_mov_b32_e32 v5, v4
	s_waitcnt lgkmcnt(0)
	s_load_dwordx4 s[0:3], s[8:9], 0x0
	buffer_store_dword v5, off, s[28:31], 0 offset:80 ; 4-byte Folded Spill
	s_nop 0
	buffer_store_dword v6, off, s[28:31], 0 offset:84 ; 4-byte Folded Spill
	v_lshlrev_b32_e32 v8, 4, v62
	global_load_dwordx4 v[48:51], v8, s[12:13]
	v_and_b32_e32 v13, 1, v13
	s_waitcnt lgkmcnt(0)
	v_mad_u64_u32 v[0:1], s[6:7], s2, v4, 0
	v_mad_u64_u32 v[2:3], s[6:7], s0, v62, 0
	s_mul_i32 s16, s0, 0x3f00
	s_movk_i32 s6, 0x3000
	v_mad_u64_u32 v[4:5], s[2:3], s3, v4, v[1:2]
	s_mul_hi_u32 s7, s0, 0xffffc800
	s_mul_i32 s17, s0, 0xffffc800
	v_mad_u64_u32 v[5:6], s[2:3], s1, v62, v[3:4]
	v_mov_b32_e32 v1, v4
	v_lshlrev_b64 v[0:1], 4, v[0:1]
	v_mov_b32_e32 v6, s19
	v_mov_b32_e32 v3, v5
	v_add_co_u32_e32 v11, vcc, s18, v0
	v_addc_co_u32_e32 v12, vcc, v6, v1, vcc
	v_lshlrev_b64 v[0:1], 4, v[2:3]
	v_mov_b32_e32 v2, s13
	v_add_co_u32_e32 v0, vcc, v11, v0
	v_addc_co_u32_e32 v1, vcc, v12, v1, vcc
	v_add_co_u32_e32 v9, vcc, s12, v8
	s_mul_i32 s2, s1, 0x3f00
	s_mul_hi_u32 s3, s0, 0x3f00
	v_addc_co_u32_e32 v10, vcc, 0, v2, vcc
	s_add_i32 s3, s3, s2
	global_load_dwordx4 v[4:7], v[0:1], off
	v_mov_b32_e32 v2, s3
	v_add_co_u32_e32 v0, vcc, s16, v0
	v_addc_co_u32_e32 v1, vcc, v1, v2, vcc
	v_add_co_u32_e32 v18, vcc, s6, v9
	v_addc_co_u32_e32 v19, vcc, 0, v10, vcc
	global_load_dwordx4 v[14:17], v[0:1], off
	global_load_dwordx4 v[44:47], v[18:19], off offset:3840
	s_mul_i32 s2, s1, 0xffffc800
	s_sub_i32 s18, s7, s0
	s_add_i32 s18, s18, s2
	v_mov_b32_e32 v2, s18
	v_add_co_u32_e32 v20, vcc, s17, v0
	v_addc_co_u32_e32 v21, vcc, v1, v2, vcc
	v_mov_b32_e32 v22, 0x7e0
	s_movk_i32 s19, 0x4000
	v_cmp_eq_u32_e32 vcc, 1, v13
	v_cndmask_b32_e32 v71, 0, v22, vcc
	v_add_co_u32_e32 v22, vcc, s19, v9
	v_addc_co_u32_e32 v23, vcc, 0, v10, vcc
	global_load_dwordx4 v[88:91], v8, s[12:13] offset:1792
	global_load_dwordx4 v[0:3], v[20:21], off
	s_load_dwordx4 s[8:11], s[10:11], 0x0
	global_load_dwordx4 v[96:99], v8, s[12:13] offset:3584
	global_load_dwordx4 v[100:103], v[22:23], off offset:1536
	global_load_dwordx4 v[92:95], v[22:23], off offset:3328
	;; [unrolled: 1-line block ×3, first 2 shown]
	v_mov_b32_e32 v13, s3
	v_add_co_u32_e32 v22, vcc, s16, v20
	v_addc_co_u32_e32 v23, vcc, v21, v13, vcc
	v_mov_b32_e32 v24, s18
	v_add_co_u32_e32 v26, vcc, s17, v22
	v_addc_co_u32_e32 v27, vcc, v23, v24, vcc
	;; [unrolled: 3-line block ×4, first 2 shown]
	global_load_dwordx4 v[18:21], v[22:23], off
	s_movk_i32 s7, 0x1000
	global_load_dwordx4 v[22:25], v[26:27], off
	s_movk_i32 s19, 0x5000
	global_load_dwordx4 v[26:29], v[30:31], off
	v_or_b32_e32 v83, 0x700, v62
	global_load_dwordx4 v[30:33], v[42:43], off
	v_mad_u64_u32 v[76:77], s[20:21], s0, v83, 0
	v_or_b32_e32 v108, 0x380, v62
	v_mov_b32_e32 v72, s18
	s_movk_i32 s2, 0x70
                                        ; implicit-def: $vgpr248_vgpr249
                                        ; implicit-def: $vgpr252_vgpr253
	s_waitcnt vmcnt(12)
	v_mul_f64 v[34:35], v[6:7], v[50:51]
	v_mul_f64 v[36:37], v[4:5], v[50:51]
	v_fma_f64 v[4:5], v[4:5], v[48:49], v[34:35]
	buffer_store_dword v48, off, s[28:31], 0 offset:104 ; 4-byte Folded Spill
	s_nop 0
	buffer_store_dword v49, off, s[28:31], 0 offset:108 ; 4-byte Folded Spill
	buffer_store_dword v50, off, s[28:31], 0 offset:112 ; 4-byte Folded Spill
	;; [unrolled: 1-line block ×3, first 2 shown]
	s_waitcnt vmcnt(14)
	v_mul_f64 v[38:39], v[16:17], v[46:47]
	v_mul_f64 v[40:41], v[14:15], v[46:47]
	v_fma_f64 v[13:14], v[14:15], v[44:45], v[38:39]
	buffer_store_dword v44, off, s[28:31], 0 ; 4-byte Folded Spill
	s_nop 0
	buffer_store_dword v45, off, s[28:31], 0 offset:4 ; 4-byte Folded Spill
	buffer_store_dword v46, off, s[28:31], 0 offset:8 ; 4-byte Folded Spill
	;; [unrolled: 1-line block ×3, first 2 shown]
	s_waitcnt vmcnt(16)
	v_mul_f64 v[65:66], v[2:3], v[90:91]
	v_mul_f64 v[67:68], v[0:1], v[90:91]
	v_fma_f64 v[6:7], v[6:7], v[48:49], -v[36:37]
	v_fma_f64 v[15:16], v[16:17], v[44:45], -v[40:41]
	v_add_co_u32_e32 v44, vcc, s7, v9
	v_addc_co_u32_e32 v45, vcc, 0, v10, vcc
	v_mov_b32_e32 v17, s3
	v_add_co_u32_e32 v38, vcc, s16, v42
	v_addc_co_u32_e32 v39, vcc, v43, v17, vcc
	v_add_co_u32_e32 v46, vcc, s19, v9
	v_addc_co_u32_e32 v47, vcc, 0, v10, vcc
	v_mov_b32_e32 v17, s18
	v_add_co_u32_e32 v42, vcc, s17, v38
	v_addc_co_u32_e32 v43, vcc, v39, v17, vcc
	v_mov_b32_e32 v17, s3
	v_add_co_u32_e32 v48, vcc, s16, v42
	v_addc_co_u32_e32 v49, vcc, v43, v17, vcc
	v_mov_b32_e32 v17, s18
	v_add_co_u32_e32 v50, vcc, s17, v48
	v_addc_co_u32_e32 v51, vcc, v49, v17, vcc
	s_movk_i32 s19, 0x2000
	v_add_co_u32_e32 v58, vcc, s19, v9
	v_addc_co_u32_e32 v59, vcc, 0, v10, vcc
	v_mov_b32_e32 v17, s3
	v_add_co_u32_e32 v54, vcc, s16, v50
	v_addc_co_u32_e32 v55, vcc, v51, v17, vcc
	s_movk_i32 s19, 0x6000
	v_add_co_u32_e32 v63, vcc, s19, v9
	v_addc_co_u32_e32 v64, vcc, 0, v10, vcc
	v_mov_b32_e32 v17, s18
	v_add_co_u32_e32 v60, vcc, s17, v54
	v_addc_co_u32_e32 v61, vcc, v55, v17, vcc
	v_mov_b32_e32 v17, s3
	;; [unrolled: 3-line block ×3, first 2 shown]
	global_load_dwordx4 v[34:37], v[38:39], off
	s_nop 0
	global_load_dwordx4 v[38:41], v[42:43], off
	global_load_dwordx4 v[141:144], v[44:45], off offset:1280
	global_load_dwordx4 v[117:120], v[44:45], off offset:3072
	s_nop 0
	global_load_dwordx4 v[42:45], v[48:49], off
	global_load_dwordx4 v[133:136], v[46:47], off offset:1024
	global_load_dwordx4 v[113:116], v[46:47], off offset:2816
	s_mov_b32 s3, 0xbfebb67a
	global_load_dwordx4 v[46:49], v[50:51], off
	s_nop 0
	global_load_dwordx4 v[50:53], v[54:55], off
	s_nop 0
	global_load_dwordx4 v[54:57], v[60:61], off
	global_load_dwordx4 v[129:132], v[58:59], off offset:768
	global_load_dwordx4 v[109:112], v[58:59], off offset:2560
	s_nop 0
	global_load_dwordx4 v[58:61], v[69:70], off
	global_load_dwordx4 v[145:148], v[63:64], off offset:512
	global_load_dwordx4 v[121:124], v[63:64], off offset:2304
	s_waitcnt vmcnt(26)
	v_mad_u64_u32 v[63:64], s[18:19], s1, v83, v[17:18]
	v_add_co_u32_e32 v69, vcc, s17, v69
	v_mad_u64_u32 v[80:81], s[16:17], s0, v108, 0
	v_mov_b32_e32 v77, v63
	v_lshlrev_b64 v[63:64], 4, v[76:77]
	v_mov_b32_e32 v17, v81
	v_mad_u64_u32 v[81:82], s[16:17], s1, v108, v[17:18]
	v_addc_co_u32_e32 v70, vcc, v70, v72, vcc
	v_add_co_u32_e32 v63, vcc, v11, v63
	v_addc_co_u32_e32 v64, vcc, v12, v64, vcc
	global_load_dwordx4 v[76:79], v[63:64], off
	v_lshlrev_b64 v[63:64], 4, v[80:81]
	buffer_store_dword v83, off, s[28:31], 0 offset:120 ; 4-byte Folded Spill
	v_add_co_u32_e32 v11, vcc, v11, v63
	v_addc_co_u32_e32 v12, vcc, v12, v64, vcc
	v_lshlrev_b32_e32 v17, 4, v83
	global_load_dwordx4 v[80:83], v[11:12], off
	v_mov_b32_e32 v11, 0x4600
	v_mad_u64_u32 v[11:12], s[16:17], s0, v11, v[69:70]
	s_mul_i32 s0, s1, 0x4600
	global_load_dwordx4 v[125:128], v17, s[12:13]
	v_add_u32_e32 v12, s0, v12
	s_movk_i32 s0, 0x7000
	v_add_co_u32_e32 v9, vcc, s0, v9
	v_addc_co_u32_e32 v10, vcc, 0, v10, vcc
	global_load_dwordx4 v[149:152], v[9:10], off offset:1792
	v_mul_f64 v[9:10], v[20:21], v[102:103]
	v_lshlrev_b32_e32 v64, 4, v71
	buffer_store_dword v17, off, s[28:31], 0 offset:548 ; 4-byte Folded Spill
	v_lshlrev_b32_e32 v17, 4, v108
	v_add_u32_e32 v63, v64, v8
	global_load_dwordx4 v[72:75], v[69:70], off
	global_load_dwordx4 v[137:140], v17, s[12:13]
	global_load_dwordx4 v[84:87], v[11:12], off
	v_mul_f64 v[11:12], v[18:19], v[102:103]
	buffer_store_dword v17, off, s[28:31], 0 offset:552 ; 4-byte Folded Spill
	ds_write_b128 v63, v[4:7]
	ds_write_b128 v63, v[13:16] offset:16128
	v_fma_f64 v[4:5], v[0:1], v[88:89], v[65:66]
	buffer_store_dword v88, off, s[28:31], 0 offset:16 ; 4-byte Folded Spill
	s_nop 0
	buffer_store_dword v89, off, s[28:31], 0 offset:20 ; 4-byte Folded Spill
	buffer_store_dword v90, off, s[28:31], 0 offset:24 ; 4-byte Folded Spill
	;; [unrolled: 1-line block ×3, first 2 shown]
	v_fma_f64 v[8:9], v[18:19], v[100:101], v[9:10]
	buffer_store_dword v100, off, s[28:31], 0 offset:64 ; 4-byte Folded Spill
	s_nop 0
	buffer_store_dword v101, off, s[28:31], 0 offset:68 ; 4-byte Folded Spill
	buffer_store_dword v102, off, s[28:31], 0 offset:72 ; 4-byte Folded Spill
	;; [unrolled: 1-line block ×3, first 2 shown]
	s_waitcnt vmcnt(43)
	v_mul_f64 v[0:1], v[24:25], v[98:99]
	s_waitcnt vmcnt(42)
	v_mul_f64 v[14:15], v[28:29], v[94:95]
	v_mul_f64 v[16:17], v[26:27], v[94:95]
	s_movk_i32 s0, 0xe0
	s_movk_i32 s1, 0x150
	;; [unrolled: 1-line block ×4, first 2 shown]
	s_waitcnt vmcnt(18)
	v_mul_f64 v[18:19], v[58:59], v[123:124]
	v_fma_f64 v[6:7], v[2:3], v[88:89], -v[67:68]
	v_add_co_u32_e32 v3, vcc, s2, v62
	v_fma_f64 v[10:11], v[20:21], v[100:101], -v[11:12]
	v_mul_f64 v[12:13], v[22:23], v[98:99]
	ds_write_b128 v63, v[4:7] offset:1792
	ds_write_b128 v63, v[8:11] offset:17920
	v_fma_f64 v[4:5], v[22:23], v[96:97], v[0:1]
	buffer_store_dword v96, off, s[28:31], 0 offset:48 ; 4-byte Folded Spill
	s_nop 0
	buffer_store_dword v97, off, s[28:31], 0 offset:52 ; 4-byte Folded Spill
	buffer_store_dword v98, off, s[28:31], 0 offset:56 ; 4-byte Folded Spill
	;; [unrolled: 1-line block ×3, first 2 shown]
	v_fma_f64 v[8:9], v[26:27], v[92:93], v[14:15]
	buffer_store_dword v92, off, s[28:31], 0 offset:32 ; 4-byte Folded Spill
	s_nop 0
	buffer_store_dword v93, off, s[28:31], 0 offset:36 ; 4-byte Folded Spill
	buffer_store_dword v94, off, s[28:31], 0 offset:40 ; 4-byte Folded Spill
	;; [unrolled: 1-line block ×3, first 2 shown]
	v_mul_f64 v[0:1], v[32:33], v[143:144]
	v_mul_f64 v[14:15], v[36:37], v[135:136]
	s_waitcnt vmcnt(22)
	v_mul_f64 v[20:21], v[78:79], v[127:128]
	v_mul_f64 v[22:23], v[76:77], v[127:128]
	s_waitcnt vmcnt(18)
	v_mul_f64 v[26:27], v[80:81], v[139:140]
	v_add_co_u32_e32 v2, vcc, s1, v62
	s_movk_i32 s1, 0x1c0
	s_movk_i32 s2, 0x5fc
	v_fma_f64 v[20:21], v[76:77], v[125:126], v[20:21]
	v_fma_f64 v[6:7], v[24:25], v[96:97], -v[12:13]
	v_mul_f64 v[12:13], v[30:31], v[143:144]
	v_fma_f64 v[10:11], v[28:29], v[92:93], -v[16:17]
	ds_write_b128 v63, v[4:7] offset:3584
	ds_write_b128 v63, v[8:11] offset:19712
	v_fma_f64 v[4:5], v[30:31], v[141:142], v[0:1]
	buffer_store_dword v141, off, s[28:31], 0 offset:256 ; 4-byte Folded Spill
	s_nop 0
	buffer_store_dword v142, off, s[28:31], 0 offset:260 ; 4-byte Folded Spill
	buffer_store_dword v143, off, s[28:31], 0 offset:264 ; 4-byte Folded Spill
	;; [unrolled: 1-line block ×3, first 2 shown]
	v_mul_f64 v[0:1], v[40:41], v[119:120]
	v_mul_f64 v[10:11], v[34:35], v[135:136]
	v_fma_f64 v[8:9], v[34:35], v[133:134], v[14:15]
	buffer_store_dword v133, off, s[28:31], 0 offset:224 ; 4-byte Folded Spill
	s_nop 0
	buffer_store_dword v134, off, s[28:31], 0 offset:228 ; 4-byte Folded Spill
	buffer_store_dword v135, off, s[28:31], 0 offset:232 ; 4-byte Folded Spill
	;; [unrolled: 1-line block ×3, first 2 shown]
	v_mul_f64 v[14:15], v[44:45], v[115:116]
	v_mul_f64 v[16:17], v[42:43], v[115:116]
	;; [unrolled: 1-line block ×3, first 2 shown]
	s_waitcnt vmcnt(25)
	v_mul_f64 v[29:30], v[86:87], v[151:152]
	v_add_co_u32_e32 v28, vcc, s0, v62
	v_fma_f64 v[24:25], v[80:81], v[137:138], v[24:25]
	v_fma_f64 v[29:30], v[84:85], v[149:150], v[29:30]
	v_fma_f64 v[6:7], v[32:33], v[141:142], -v[12:13]
	v_mul_f64 v[12:13], v[38:39], v[119:120]
	v_mul_f64 v[31:32], v[84:85], v[151:152]
	v_fma_f64 v[10:11], v[36:37], v[133:134], -v[10:11]
	ds_write_b128 v63, v[4:7] offset:5376
	v_fma_f64 v[4:5], v[38:39], v[117:118], v[0:1]
	buffer_store_dword v117, off, s[28:31], 0 offset:160 ; 4-byte Folded Spill
	s_nop 0
	buffer_store_dword v118, off, s[28:31], 0 offset:164 ; 4-byte Folded Spill
	buffer_store_dword v119, off, s[28:31], 0 offset:168 ; 4-byte Folded Spill
	;; [unrolled: 1-line block ×3, first 2 shown]
	v_add_co_u32_e32 v1, vcc, s1, v62
	s_movk_i32 s1, 0x230
	v_add_co_u32_e32 v0, vcc, s1, v62
	s_movk_i32 s1, 0xfc
	v_fma_f64 v[6:7], v[40:41], v[117:118], -v[12:13]
	v_fma_f64 v[12:13], v[42:43], v[113:114], v[14:15]
	buffer_store_dword v113, off, s[28:31], 0 offset:144 ; 4-byte Folded Spill
	s_nop 0
	buffer_store_dword v114, off, s[28:31], 0 offset:148 ; 4-byte Folded Spill
	buffer_store_dword v115, off, s[28:31], 0 offset:152 ; 4-byte Folded Spill
	;; [unrolled: 1-line block ×3, first 2 shown]
	ds_write_b128 v63, v[8:11] offset:21504
	v_mul_f64 v[8:9], v[48:49], v[131:132]
	v_mul_f64 v[10:11], v[46:47], v[131:132]
	v_fma_f64 v[14:15], v[44:45], v[113:114], -v[16:17]
	ds_write_b128 v63, v[4:7] offset:7168
	ds_write_b128 v63, v[12:15] offset:23296
	v_fma_f64 v[4:5], v[46:47], v[129:130], v[8:9]
	buffer_store_dword v129, off, s[28:31], 0 offset:208 ; 4-byte Folded Spill
	s_nop 0
	buffer_store_dword v130, off, s[28:31], 0 offset:212 ; 4-byte Folded Spill
	buffer_store_dword v131, off, s[28:31], 0 offset:216 ; 4-byte Folded Spill
	;; [unrolled: 1-line block ×3, first 2 shown]
	v_mul_f64 v[8:9], v[52:53], v[147:148]
	v_mul_f64 v[12:13], v[56:57], v[111:112]
	;; [unrolled: 1-line block ×4, first 2 shown]
	v_fma_f64 v[6:7], v[48:49], v[129:130], -v[10:11]
	v_mul_f64 v[10:11], v[50:51], v[147:148]
	ds_write_b128 v63, v[4:7] offset:8960
	v_fma_f64 v[4:5], v[50:51], v[145:146], v[8:9]
	buffer_store_dword v145, off, s[28:31], 0 offset:272 ; 4-byte Folded Spill
	s_nop 0
	buffer_store_dword v146, off, s[28:31], 0 offset:276 ; 4-byte Folded Spill
	buffer_store_dword v147, off, s[28:31], 0 offset:280 ; 4-byte Folded Spill
	buffer_store_dword v148, off, s[28:31], 0 offset:284 ; 4-byte Folded Spill
	v_fma_f64 v[8:9], v[54:55], v[109:110], v[12:13]
	buffer_store_dword v109, off, s[28:31], 0 offset:128 ; 4-byte Folded Spill
	s_nop 0
	buffer_store_dword v110, off, s[28:31], 0 offset:132 ; 4-byte Folded Spill
	buffer_store_dword v111, off, s[28:31], 0 offset:136 ; 4-byte Folded Spill
	buffer_store_dword v112, off, s[28:31], 0 offset:140 ; 4-byte Folded Spill
	;; [unrolled: 6-line block ×3, first 2 shown]
	v_mul_f64 v[16:17], v[74:75], v[106:107]
	v_fma_f64 v[16:17], v[72:73], v[104:105], v[16:17]
	v_fma_f64 v[6:7], v[52:53], v[145:146], -v[10:11]
	v_fma_f64 v[10:11], v[56:57], v[109:110], -v[14:15]
	;; [unrolled: 1-line block ×3, first 2 shown]
	v_mul_f64 v[18:19], v[72:73], v[106:107]
	buffer_store_dword v104, off, s[28:31], 0 offset:88 ; 4-byte Folded Spill
	s_nop 0
	buffer_store_dword v105, off, s[28:31], 0 offset:92 ; 4-byte Folded Spill
	buffer_store_dword v106, off, s[28:31], 0 offset:96 ; 4-byte Folded Spill
	buffer_store_dword v107, off, s[28:31], 0 offset:100 ; 4-byte Folded Spill
	buffer_store_dword v125, off, s[28:31], 0 offset:192 ; 4-byte Folded Spill
	s_nop 0
	buffer_store_dword v126, off, s[28:31], 0 offset:196 ; 4-byte Folded Spill
	buffer_store_dword v127, off, s[28:31], 0 offset:200 ; 4-byte Folded Spill
	buffer_store_dword v128, off, s[28:31], 0 offset:204 ; 4-byte Folded Spill
	;; [unrolled: 5-line block ×4, first 2 shown]
	ds_write_b128 v63, v[4:7] offset:25088
	ds_write_b128 v63, v[8:11] offset:10752
	;; [unrolled: 1-line block ×3, first 2 shown]
	v_lshlrev_b32_e32 v4, 1, v62
	v_and_b32_e32 v61, 31, v3
	v_fma_f64 v[18:19], v[74:75], v[104:105], -v[18:19]
	v_fma_f64 v[22:23], v[78:79], v[125:126], -v[22:23]
	;; [unrolled: 1-line block ×4, first 2 shown]
	ds_write_b128 v63, v[16:19] offset:12544
	ds_write_b128 v63, v[20:23] offset:28672
	;; [unrolled: 1-line block ×4, first 2 shown]
	s_waitcnt vmcnt(0) lgkmcnt(0)
	s_barrier
	ds_read_b128 v[5:8], v63 offset:16128
	ds_read_b128 v[9:12], v63
	ds_read_b128 v[13:16], v63 offset:1792
	ds_read_b128 v[17:20], v63 offset:17920
	ds_read_b128 v[21:24], v63 offset:19712
	ds_read_b128 v[29:32], v63 offset:3584
	ds_read_b128 v[33:36], v63 offset:5376
	ds_read_b128 v[37:40], v63 offset:21504
	ds_read_b128 v[41:44], v63 offset:23296
	ds_read_b128 v[45:48], v63 offset:7168
	ds_read_b128 v[49:52], v63 offset:8960
	ds_read_b128 v[53:56], v63 offset:14336
	s_waitcnt lgkmcnt(10)
	v_add_f64 v[5:6], v[9:10], -v[5:6]
	v_add_f64 v[7:8], v[11:12], -v[7:8]
	s_waitcnt lgkmcnt(8)
	v_add_f64 v[17:18], v[13:14], -v[17:18]
	v_add_f64 v[19:20], v[15:16], -v[19:20]
	;; [unrolled: 3-line block ×4, first 2 shown]
	ds_read_b128 v[57:60], v63 offset:25088
	ds_read_b128 v[72:75], v63 offset:26880
	;; [unrolled: 1-line block ×6, first 2 shown]
	s_waitcnt lgkmcnt(8)
	v_add_f64 v[41:42], v[45:46], -v[41:42]
	v_add_f64 v[43:44], v[47:48], -v[43:44]
	s_waitcnt lgkmcnt(5)
	v_add_f64 v[57:58], v[49:50], -v[57:58]
	v_add_f64 v[59:60], v[51:52], -v[59:60]
	;; [unrolled: 3-line block ×3, first 2 shown]
	v_fma_f64 v[9:10], v[9:10], 2.0, -v[5:6]
	v_fma_f64 v[11:12], v[11:12], 2.0, -v[7:8]
	;; [unrolled: 1-line block ×4, first 2 shown]
	s_waitcnt lgkmcnt(1)
	v_add_f64 v[84:85], v[80:81], -v[84:85]
	v_add_f64 v[86:87], v[82:83], -v[86:87]
	v_fma_f64 v[29:30], v[29:30], 2.0, -v[21:22]
	v_fma_f64 v[31:32], v[31:32], 2.0, -v[23:24]
	s_waitcnt lgkmcnt(0)
	v_add_f64 v[88:89], v[53:54], -v[88:89]
	v_add_f64 v[90:91], v[55:56], -v[90:91]
	v_fma_f64 v[33:34], v[33:34], 2.0, -v[37:38]
	v_fma_f64 v[35:36], v[35:36], 2.0, -v[39:40]
	;; [unrolled: 1-line block ×8, first 2 shown]
	v_lshl_add_u32 v25, v62, 5, v64
	s_barrier
	ds_write_b128 v25, v[5:8] offset:16
	v_lshl_add_u32 v5, v3, 5, v64
	v_fma_f64 v[80:81], v[80:81], 2.0, -v[84:85]
	v_fma_f64 v[82:83], v[82:83], 2.0, -v[86:87]
	ds_write_b128 v25, v[9:12]
	ds_write_b128 v5, v[13:16]
	buffer_store_dword v5, off, s[28:31], 0 offset:516 ; 4-byte Folded Spill
	ds_write_b128 v5, v[17:20] offset:16
	v_lshl_add_u32 v5, v28, 5, v64
	v_fma_f64 v[53:54], v[53:54], 2.0, -v[88:89]
	v_fma_f64 v[55:56], v[55:56], 2.0, -v[90:91]
	ds_write_b128 v5, v[29:32]
	buffer_store_dword v5, off, s[28:31], 0 offset:520 ; 4-byte Folded Spill
	ds_write_b128 v5, v[21:24] offset:16
	v_lshl_add_u32 v5, v2, 5, v64
	ds_write_b128 v5, v[33:36]
	buffer_store_dword v5, off, s[28:31], 0 offset:524 ; 4-byte Folded Spill
	ds_write_b128 v5, v[37:40] offset:16
	v_lshl_add_u32 v5, v1, 5, v64
	;; [unrolled: 4-line block ×3, first 2 shown]
	ds_write_b128 v5, v[49:52]
	buffer_store_dword v5, off, s[28:31], 0 offset:532 ; 4-byte Folded Spill
	ds_write_b128 v5, v[57:60] offset:16
	v_add_u32_e32 v5, 0x540, v4
	v_lshl_add_u32 v6, v5, 4, v64
	ds_write_b128 v6, v[76:79]
	buffer_store_dword v6, off, s[28:31], 0 offset:536 ; 4-byte Folded Spill
	ds_write_b128 v6, v[72:75] offset:16
	v_add_u32_e32 v6, 0x620, v4
	v_lshl_add_u32 v7, v6, 4, v64
	ds_write_b128 v7, v[80:83]
	buffer_store_dword v7, off, s[28:31], 0 offset:540 ; 4-byte Folded Spill
	ds_write_b128 v7, v[84:87] offset:16
	v_lshl_add_u32 v7, v108, 5, v64
	v_and_b32_e32 v27, 1, v62
	ds_write_b128 v7, v[53:56]
	buffer_store_dword v7, off, s[28:31], 0 offset:544 ; 4-byte Folded Spill
	ds_write_b128 v7, v[88:91] offset:16
	v_lshlrev_b32_e32 v7, 4, v27
	buffer_store_dword v25, off, s[28:31], 0 offset:512 ; 4-byte Folded Spill
	s_waitcnt vmcnt(0) lgkmcnt(0)
	s_barrier
	global_load_dwordx4 v[232:235], v7, s[14:15]
	v_lshlrev_b32_e32 v12, 1, v3
	buffer_store_dword v108, off, s[28:31], 0 offset:124 ; 4-byte Folded Spill
	ds_read_b128 v[13:16], v63 offset:16128
	ds_read_b128 v[17:20], v63
	ds_read_b128 v[21:24], v63 offset:1792
	ds_read_b128 v[29:32], v63 offset:17920
	;; [unrolled: 1-line block ×16, first 2 shown]
	s_waitcnt vmcnt(0) lgkmcnt(0)
	s_barrier
	v_lshlrev_b32_e32 v11, 1, v28
	v_lshlrev_b32_e32 v10, 1, v2
	;; [unrolled: 1-line block ×5, first 2 shown]
	v_mul_f64 v[25:26], v[15:16], v[234:235]
	v_mul_f64 v[67:68], v[31:32], v[234:235]
	;; [unrolled: 1-line block ×8, first 2 shown]
	v_fma_f64 v[13:14], v[13:14], v[232:233], -v[25:26]
	v_fma_f64 v[25:26], v[29:30], v[232:233], -v[67:68]
	v_mul_f64 v[29:30], v[35:36], v[234:235]
	v_fma_f64 v[15:16], v[15:16], v[232:233], v[65:66]
	v_fma_f64 v[31:32], v[31:32], v[232:233], v[69:70]
	v_mul_f64 v[65:66], v[33:34], v[234:235]
	v_mul_f64 v[69:70], v[45:46], v[234:235]
	;; [unrolled: 1-line block ×3, first 2 shown]
	v_fma_f64 v[49:50], v[49:50], v[232:233], -v[100:101]
	v_fma_f64 v[51:52], v[51:52], v[232:233], v[102:103]
	v_fma_f64 v[33:34], v[33:34], v[232:233], -v[29:30]
	v_mul_f64 v[29:30], v[78:79], v[234:235]
	v_mul_f64 v[100:101], v[98:99], v[234:235]
	v_fma_f64 v[35:36], v[35:36], v[232:233], v[65:66]
	v_fma_f64 v[47:48], v[47:48], v[232:233], v[69:70]
	v_mul_f64 v[69:70], v[76:77], v[234:235]
	v_fma_f64 v[45:46], v[45:46], v[232:233], -v[67:68]
	v_fma_f64 v[65:66], v[72:73], v[232:233], -v[104:105]
	v_fma_f64 v[67:68], v[74:75], v[232:233], v[106:107]
	v_mul_f64 v[71:72], v[94:95], v[234:235]
	v_mul_f64 v[73:74], v[92:93], v[234:235]
	;; [unrolled: 1-line block ×3, first 2 shown]
	v_add_f64 v[13:14], v[17:18], -v[13:14]
	v_add_f64 v[15:16], v[19:20], -v[15:16]
	v_fma_f64 v[76:77], v[76:77], v[232:233], -v[29:30]
	v_add_f64 v[29:30], v[21:22], -v[25:26]
	v_add_f64 v[31:32], v[23:24], -v[31:32]
	v_fma_f64 v[69:70], v[78:79], v[232:233], v[69:70]
	v_add_f64 v[33:34], v[37:38], -v[33:34]
	v_add_f64 v[35:36], v[39:40], -v[35:36]
	v_fma_f64 v[92:93], v[92:93], v[232:233], -v[71:72]
	v_fma_f64 v[94:95], v[94:95], v[232:233], v[73:74]
	v_add_f64 v[45:46], v[41:42], -v[45:46]
	v_add_f64 v[47:48], v[43:44], -v[47:48]
	v_fma_f64 v[96:97], v[96:97], v[232:233], -v[100:101]
	v_fma_f64 v[98:99], v[98:99], v[232:233], v[102:103]
	v_add_f64 v[49:50], v[53:54], -v[49:50]
	v_add_f64 v[51:52], v[55:56], -v[51:52]
	v_fma_f64 v[17:18], v[17:18], 2.0, -v[13:14]
	v_fma_f64 v[19:20], v[19:20], 2.0, -v[15:16]
	v_fma_f64 v[21:22], v[21:22], 2.0, -v[29:30]
	v_fma_f64 v[23:24], v[23:24], 2.0, -v[31:32]
	v_add_f64 v[72:73], v[57:58], -v[65:66]
	v_add_f64 v[74:75], v[59:60], -v[67:68]
	v_fma_f64 v[37:38], v[37:38], 2.0, -v[33:34]
	v_fma_f64 v[39:40], v[39:40], 2.0, -v[35:36]
	v_add_f64 v[76:77], v[84:85], -v[76:77]
	v_add_f64 v[78:79], v[86:87], -v[69:70]
	v_fma_f64 v[41:42], v[41:42], 2.0, -v[45:46]
	v_fma_f64 v[43:44], v[43:44], 2.0, -v[47:48]
	v_add_f64 v[92:93], v[88:89], -v[92:93]
	v_add_f64 v[94:95], v[90:91], -v[94:95]
	v_and_or_b32 v25, v4, s1, v27
	v_lshl_add_u32 v25, v25, 4, v64
	s_movk_i32 s1, 0x1fc
	v_fma_f64 v[53:54], v[53:54], 2.0, -v[49:50]
	v_fma_f64 v[55:56], v[55:56], 2.0, -v[51:52]
	v_add_f64 v[96:97], v[80:81], -v[96:97]
	v_add_f64 v[98:99], v[82:83], -v[98:99]
	ds_write_b128 v25, v[13:16] offset:32
	v_and_or_b32 v13, v12, s1, v27
	v_lshl_add_u32 v13, v13, 4, v64
	s_movk_i32 s1, 0x3fc
	v_fma_f64 v[57:58], v[57:58], 2.0, -v[72:73]
	v_fma_f64 v[59:60], v[59:60], 2.0, -v[74:75]
	ds_write_b128 v25, v[17:20]
	ds_write_b128 v13, v[21:24]
	buffer_store_dword v13, off, s[28:31], 0 offset:480 ; 4-byte Folded Spill
	ds_write_b128 v13, v[29:32] offset:32
	v_and_or_b32 v13, v11, s1, v27
	v_lshl_add_u32 v13, v13, 4, v64
	v_fma_f64 v[84:85], v[84:85], 2.0, -v[76:77]
	v_fma_f64 v[86:87], v[86:87], 2.0, -v[78:79]
	ds_write_b128 v13, v[37:40]
	buffer_store_dword v13, off, s[28:31], 0 offset:484 ; 4-byte Folded Spill
	ds_write_b128 v13, v[33:36] offset:32
	v_and_or_b32 v13, v10, s1, v27
	v_lshl_add_u32 v13, v13, 4, v64
	s_movk_i32 s1, 0x7fc
	v_fma_f64 v[88:89], v[88:89], 2.0, -v[92:93]
	v_fma_f64 v[90:91], v[90:91], 2.0, -v[94:95]
	ds_write_b128 v13, v[41:44]
	buffer_store_dword v13, off, s[28:31], 0 offset:488 ; 4-byte Folded Spill
	ds_write_b128 v13, v[45:48] offset:32
	v_and_or_b32 v13, v9, s1, v27
	v_lshl_add_u32 v13, v13, 4, v64
	v_fma_f64 v[80:81], v[80:81], 2.0, -v[96:97]
	v_fma_f64 v[82:83], v[82:83], 2.0, -v[98:99]
	ds_write_b128 v13, v[53:56]
	buffer_store_dword v13, off, s[28:31], 0 offset:492 ; 4-byte Folded Spill
	ds_write_b128 v13, v[49:52] offset:32
	v_and_or_b32 v13, v8, s2, v27
	v_lshl_add_u32 v13, v13, 4, v64
	ds_write_b128 v13, v[57:60]
	buffer_store_dword v13, off, s[28:31], 0 offset:496 ; 4-byte Folded Spill
	ds_write_b128 v13, v[72:75] offset:32
	v_and_or_b32 v13, v5, s1, v27
	v_lshl_add_u32 v13, v13, 4, v64
	;; [unrolled: 5-line block ×4, first 2 shown]
	v_and_b32_e32 v27, 3, v62
	ds_write_b128 v13, v[80:83]
	buffer_store_dword v13, off, s[28:31], 0 offset:508 ; 4-byte Folded Spill
	ds_write_b128 v13, v[96:99] offset:32
	v_lshlrev_b32_e32 v13, 4, v27
	buffer_store_dword v25, off, s[28:31], 0 offset:476 ; 4-byte Folded Spill
	s_waitcnt vmcnt(0) lgkmcnt(0)
	s_barrier
	global_load_dwordx4 v[228:231], v13, s[14:15] offset:32
	ds_read_b128 v[13:16], v63 offset:16128
	ds_read_b128 v[17:20], v63
	ds_read_b128 v[21:24], v63 offset:1792
	ds_read_b128 v[29:32], v63 offset:17920
	;; [unrolled: 1-line block ×16, first 2 shown]
	s_movk_i32 s1, 0xf8
	s_waitcnt vmcnt(0) lgkmcnt(0)
	s_barrier
	s_movk_i32 s2, 0x5f8
	v_mul_f64 v[25:26], v[15:16], v[230:231]
	v_mul_f64 v[67:68], v[31:32], v[230:231]
	;; [unrolled: 1-line block ×8, first 2 shown]
	v_fma_f64 v[13:14], v[13:14], v[228:229], -v[25:26]
	v_fma_f64 v[25:26], v[29:30], v[228:229], -v[67:68]
	v_mul_f64 v[29:30], v[35:36], v[230:231]
	v_fma_f64 v[15:16], v[15:16], v[228:229], v[65:66]
	v_fma_f64 v[31:32], v[31:32], v[228:229], v[69:70]
	v_mul_f64 v[65:66], v[33:34], v[230:231]
	v_mul_f64 v[69:70], v[45:46], v[230:231]
	;; [unrolled: 1-line block ×3, first 2 shown]
	v_fma_f64 v[49:50], v[49:50], v[228:229], -v[100:101]
	v_fma_f64 v[51:52], v[51:52], v[228:229], v[102:103]
	v_fma_f64 v[33:34], v[33:34], v[228:229], -v[29:30]
	v_mul_f64 v[29:30], v[78:79], v[230:231]
	v_mul_f64 v[100:101], v[98:99], v[230:231]
	v_fma_f64 v[35:36], v[35:36], v[228:229], v[65:66]
	v_fma_f64 v[47:48], v[47:48], v[228:229], v[69:70]
	v_mul_f64 v[69:70], v[76:77], v[230:231]
	v_fma_f64 v[45:46], v[45:46], v[228:229], -v[67:68]
	v_fma_f64 v[65:66], v[72:73], v[228:229], -v[104:105]
	v_fma_f64 v[67:68], v[74:75], v[228:229], v[106:107]
	v_mul_f64 v[71:72], v[94:95], v[230:231]
	v_mul_f64 v[73:74], v[92:93], v[230:231]
	;; [unrolled: 1-line block ×3, first 2 shown]
	v_add_f64 v[13:14], v[17:18], -v[13:14]
	v_add_f64 v[15:16], v[19:20], -v[15:16]
	v_fma_f64 v[76:77], v[76:77], v[228:229], -v[29:30]
	v_add_f64 v[29:30], v[21:22], -v[25:26]
	v_add_f64 v[31:32], v[23:24], -v[31:32]
	v_fma_f64 v[69:70], v[78:79], v[228:229], v[69:70]
	v_add_f64 v[33:34], v[37:38], -v[33:34]
	v_add_f64 v[35:36], v[39:40], -v[35:36]
	v_fma_f64 v[92:93], v[92:93], v[228:229], -v[71:72]
	v_fma_f64 v[94:95], v[94:95], v[228:229], v[73:74]
	v_add_f64 v[45:46], v[41:42], -v[45:46]
	v_add_f64 v[47:48], v[43:44], -v[47:48]
	v_fma_f64 v[96:97], v[96:97], v[228:229], -v[100:101]
	v_fma_f64 v[98:99], v[98:99], v[228:229], v[102:103]
	v_add_f64 v[49:50], v[53:54], -v[49:50]
	v_add_f64 v[51:52], v[55:56], -v[51:52]
	v_fma_f64 v[17:18], v[17:18], 2.0, -v[13:14]
	v_fma_f64 v[19:20], v[19:20], 2.0, -v[15:16]
	;; [unrolled: 1-line block ×4, first 2 shown]
	v_add_f64 v[72:73], v[57:58], -v[65:66]
	v_add_f64 v[74:75], v[59:60], -v[67:68]
	v_fma_f64 v[37:38], v[37:38], 2.0, -v[33:34]
	v_fma_f64 v[39:40], v[39:40], 2.0, -v[35:36]
	v_add_f64 v[76:77], v[84:85], -v[76:77]
	v_add_f64 v[78:79], v[86:87], -v[69:70]
	v_fma_f64 v[41:42], v[41:42], 2.0, -v[45:46]
	v_fma_f64 v[43:44], v[43:44], 2.0, -v[47:48]
	v_add_f64 v[92:93], v[88:89], -v[92:93]
	v_add_f64 v[94:95], v[90:91], -v[94:95]
	v_and_or_b32 v25, v4, s1, v27
	v_lshl_add_u32 v25, v25, 4, v64
	s_movk_i32 s1, 0x1f8
	v_fma_f64 v[53:54], v[53:54], 2.0, -v[49:50]
	v_fma_f64 v[55:56], v[55:56], 2.0, -v[51:52]
	v_add_f64 v[96:97], v[80:81], -v[96:97]
	v_add_f64 v[98:99], v[82:83], -v[98:99]
	ds_write_b128 v25, v[13:16] offset:64
	v_and_or_b32 v13, v12, s1, v27
	v_lshl_add_u32 v13, v13, 4, v64
	s_movk_i32 s1, 0x3f8
	v_fma_f64 v[57:58], v[57:58], 2.0, -v[72:73]
	v_fma_f64 v[59:60], v[59:60], 2.0, -v[74:75]
	ds_write_b128 v25, v[17:20]
	ds_write_b128 v13, v[21:24]
	buffer_store_dword v13, off, s[28:31], 0 offset:444 ; 4-byte Folded Spill
	ds_write_b128 v13, v[29:32] offset:64
	v_and_or_b32 v13, v11, s1, v27
	v_lshl_add_u32 v13, v13, 4, v64
	v_fma_f64 v[84:85], v[84:85], 2.0, -v[76:77]
	v_fma_f64 v[86:87], v[86:87], 2.0, -v[78:79]
	ds_write_b128 v13, v[37:40]
	buffer_store_dword v13, off, s[28:31], 0 offset:448 ; 4-byte Folded Spill
	ds_write_b128 v13, v[33:36] offset:64
	v_and_or_b32 v13, v10, s1, v27
	v_lshl_add_u32 v13, v13, 4, v64
	s_movk_i32 s1, 0x7f8
	v_fma_f64 v[88:89], v[88:89], 2.0, -v[92:93]
	v_fma_f64 v[90:91], v[90:91], 2.0, -v[94:95]
	ds_write_b128 v13, v[41:44]
	buffer_store_dword v13, off, s[28:31], 0 offset:452 ; 4-byte Folded Spill
	ds_write_b128 v13, v[45:48] offset:64
	v_and_or_b32 v13, v9, s1, v27
	v_lshl_add_u32 v13, v13, 4, v64
	v_fma_f64 v[80:81], v[80:81], 2.0, -v[96:97]
	v_fma_f64 v[82:83], v[82:83], 2.0, -v[98:99]
	ds_write_b128 v13, v[53:56]
	buffer_store_dword v13, off, s[28:31], 0 offset:456 ; 4-byte Folded Spill
	ds_write_b128 v13, v[49:52] offset:64
	v_and_or_b32 v13, v8, s2, v27
	v_lshl_add_u32 v13, v13, 4, v64
	ds_write_b128 v13, v[57:60]
	buffer_store_dword v13, off, s[28:31], 0 offset:460 ; 4-byte Folded Spill
	ds_write_b128 v13, v[72:75] offset:64
	v_and_or_b32 v13, v5, s1, v27
	v_lshl_add_u32 v13, v13, 4, v64
	;; [unrolled: 5-line block ×4, first 2 shown]
	v_and_b32_e32 v27, 7, v62
	ds_write_b128 v13, v[80:83]
	buffer_store_dword v13, off, s[28:31], 0 offset:472 ; 4-byte Folded Spill
	ds_write_b128 v13, v[96:99] offset:64
	v_lshlrev_b32_e32 v13, 4, v27
	buffer_store_dword v25, off, s[28:31], 0 offset:440 ; 4-byte Folded Spill
	s_waitcnt vmcnt(0) lgkmcnt(0)
	s_barrier
	global_load_dwordx4 v[224:227], v13, s[14:15] offset:96
	ds_read_b128 v[13:16], v63 offset:16128
	ds_read_b128 v[17:20], v63
	ds_read_b128 v[21:24], v63 offset:1792
	ds_read_b128 v[29:32], v63 offset:17920
	;; [unrolled: 1-line block ×16, first 2 shown]
	s_movk_i32 s1, 0xf0
	s_waitcnt vmcnt(0) lgkmcnt(0)
	s_barrier
	s_movk_i32 s2, 0x5f0
	v_mul_f64 v[25:26], v[15:16], v[226:227]
	v_mul_f64 v[67:68], v[31:32], v[226:227]
	;; [unrolled: 1-line block ×8, first 2 shown]
	v_fma_f64 v[13:14], v[13:14], v[224:225], -v[25:26]
	v_fma_f64 v[25:26], v[29:30], v[224:225], -v[67:68]
	v_mul_f64 v[29:30], v[35:36], v[226:227]
	v_fma_f64 v[15:16], v[15:16], v[224:225], v[65:66]
	v_fma_f64 v[31:32], v[31:32], v[224:225], v[69:70]
	v_mul_f64 v[65:66], v[33:34], v[226:227]
	v_mul_f64 v[69:70], v[45:46], v[226:227]
	;; [unrolled: 1-line block ×3, first 2 shown]
	v_fma_f64 v[49:50], v[49:50], v[224:225], -v[100:101]
	v_fma_f64 v[51:52], v[51:52], v[224:225], v[102:103]
	v_fma_f64 v[33:34], v[33:34], v[224:225], -v[29:30]
	v_mul_f64 v[29:30], v[78:79], v[226:227]
	v_mul_f64 v[100:101], v[98:99], v[226:227]
	v_fma_f64 v[35:36], v[35:36], v[224:225], v[65:66]
	v_fma_f64 v[47:48], v[47:48], v[224:225], v[69:70]
	v_mul_f64 v[69:70], v[76:77], v[226:227]
	v_fma_f64 v[45:46], v[45:46], v[224:225], -v[67:68]
	v_fma_f64 v[65:66], v[72:73], v[224:225], -v[104:105]
	v_fma_f64 v[67:68], v[74:75], v[224:225], v[106:107]
	v_mul_f64 v[71:72], v[94:95], v[226:227]
	v_mul_f64 v[73:74], v[92:93], v[226:227]
	;; [unrolled: 1-line block ×3, first 2 shown]
	v_add_f64 v[13:14], v[17:18], -v[13:14]
	v_add_f64 v[15:16], v[19:20], -v[15:16]
	v_fma_f64 v[76:77], v[76:77], v[224:225], -v[29:30]
	v_add_f64 v[29:30], v[21:22], -v[25:26]
	v_add_f64 v[31:32], v[23:24], -v[31:32]
	v_fma_f64 v[69:70], v[78:79], v[224:225], v[69:70]
	v_add_f64 v[33:34], v[37:38], -v[33:34]
	v_add_f64 v[35:36], v[39:40], -v[35:36]
	v_fma_f64 v[92:93], v[92:93], v[224:225], -v[71:72]
	v_fma_f64 v[94:95], v[94:95], v[224:225], v[73:74]
	v_add_f64 v[45:46], v[41:42], -v[45:46]
	v_add_f64 v[47:48], v[43:44], -v[47:48]
	v_fma_f64 v[96:97], v[96:97], v[224:225], -v[100:101]
	v_fma_f64 v[98:99], v[98:99], v[224:225], v[102:103]
	v_add_f64 v[49:50], v[53:54], -v[49:50]
	v_add_f64 v[51:52], v[55:56], -v[51:52]
	v_fma_f64 v[17:18], v[17:18], 2.0, -v[13:14]
	v_fma_f64 v[19:20], v[19:20], 2.0, -v[15:16]
	;; [unrolled: 1-line block ×4, first 2 shown]
	v_add_f64 v[72:73], v[57:58], -v[65:66]
	v_add_f64 v[74:75], v[59:60], -v[67:68]
	v_fma_f64 v[37:38], v[37:38], 2.0, -v[33:34]
	v_fma_f64 v[39:40], v[39:40], 2.0, -v[35:36]
	v_add_f64 v[76:77], v[84:85], -v[76:77]
	v_add_f64 v[78:79], v[86:87], -v[69:70]
	v_fma_f64 v[41:42], v[41:42], 2.0, -v[45:46]
	v_fma_f64 v[43:44], v[43:44], 2.0, -v[47:48]
	v_add_f64 v[92:93], v[88:89], -v[92:93]
	v_add_f64 v[94:95], v[90:91], -v[94:95]
	v_and_or_b32 v25, v4, s1, v27
	v_lshl_add_u32 v25, v25, 4, v64
	s_movk_i32 s1, 0x1f0
	v_fma_f64 v[53:54], v[53:54], 2.0, -v[49:50]
	v_fma_f64 v[55:56], v[55:56], 2.0, -v[51:52]
	v_add_f64 v[96:97], v[80:81], -v[96:97]
	v_add_f64 v[98:99], v[82:83], -v[98:99]
	ds_write_b128 v25, v[13:16] offset:128
	v_and_or_b32 v13, v12, s1, v27
	v_lshl_add_u32 v13, v13, 4, v64
	s_movk_i32 s1, 0x3f0
	v_fma_f64 v[57:58], v[57:58], 2.0, -v[72:73]
	v_fma_f64 v[59:60], v[59:60], 2.0, -v[74:75]
	ds_write_b128 v25, v[17:20]
	ds_write_b128 v13, v[21:24]
	buffer_store_dword v13, off, s[28:31], 0 offset:408 ; 4-byte Folded Spill
	ds_write_b128 v13, v[29:32] offset:128
	v_and_or_b32 v13, v11, s1, v27
	v_lshl_add_u32 v13, v13, 4, v64
	v_fma_f64 v[84:85], v[84:85], 2.0, -v[76:77]
	v_fma_f64 v[86:87], v[86:87], 2.0, -v[78:79]
	ds_write_b128 v13, v[37:40]
	buffer_store_dword v13, off, s[28:31], 0 offset:412 ; 4-byte Folded Spill
	ds_write_b128 v13, v[33:36] offset:128
	v_and_or_b32 v13, v10, s1, v27
	v_lshl_add_u32 v13, v13, 4, v64
	s_movk_i32 s1, 0x7f0
	v_fma_f64 v[88:89], v[88:89], 2.0, -v[92:93]
	v_fma_f64 v[90:91], v[90:91], 2.0, -v[94:95]
	ds_write_b128 v13, v[41:44]
	buffer_store_dword v13, off, s[28:31], 0 offset:416 ; 4-byte Folded Spill
	ds_write_b128 v13, v[45:48] offset:128
	v_and_or_b32 v13, v9, s1, v27
	v_lshl_add_u32 v13, v13, 4, v64
	v_fma_f64 v[80:81], v[80:81], 2.0, -v[96:97]
	v_fma_f64 v[82:83], v[82:83], 2.0, -v[98:99]
	ds_write_b128 v13, v[53:56]
	buffer_store_dword v13, off, s[28:31], 0 offset:420 ; 4-byte Folded Spill
	ds_write_b128 v13, v[49:52] offset:128
	v_and_or_b32 v13, v8, s2, v27
	v_lshl_add_u32 v13, v13, 4, v64
	ds_write_b128 v13, v[57:60]
	buffer_store_dword v13, off, s[28:31], 0 offset:424 ; 4-byte Folded Spill
	ds_write_b128 v13, v[72:75] offset:128
	v_and_or_b32 v13, v5, s1, v27
	v_lshl_add_u32 v13, v13, 4, v64
	;; [unrolled: 5-line block ×4, first 2 shown]
	v_and_b32_e32 v27, 15, v62
	ds_write_b128 v13, v[80:83]
	buffer_store_dword v13, off, s[28:31], 0 offset:436 ; 4-byte Folded Spill
	ds_write_b128 v13, v[96:99] offset:128
	v_lshlrev_b32_e32 v13, 4, v27
	buffer_store_dword v25, off, s[28:31], 0 offset:404 ; 4-byte Folded Spill
	s_waitcnt vmcnt(0) lgkmcnt(0)
	s_barrier
	global_load_dwordx4 v[200:203], v13, s[14:15] offset:224
	ds_read_b128 v[13:16], v63 offset:16128
	ds_read_b128 v[17:20], v63
	ds_read_b128 v[21:24], v63 offset:1792
	ds_read_b128 v[29:32], v63 offset:17920
	;; [unrolled: 1-line block ×16, first 2 shown]
	v_and_or_b32 v4, v4, s0, v27
	v_lshl_add_u32 v4, v4, 4, v64
	s_movk_i32 s0, 0x1e0
	s_waitcnt vmcnt(0) lgkmcnt(0)
	s_barrier
	buffer_store_dword v4, off, s[28:31], 0 offset:360 ; 4-byte Folded Spill
	s_movk_i32 s1, 0x7e0
	v_mul_f64 v[25:26], v[15:16], v[202:203]
	v_mul_f64 v[67:68], v[31:32], v[202:203]
	;; [unrolled: 1-line block ×8, first 2 shown]
	v_fma_f64 v[13:14], v[13:14], v[200:201], -v[25:26]
	v_fma_f64 v[25:26], v[29:30], v[200:201], -v[67:68]
	v_mul_f64 v[29:30], v[35:36], v[202:203]
	v_fma_f64 v[15:16], v[15:16], v[200:201], v[65:66]
	v_fma_f64 v[31:32], v[31:32], v[200:201], v[69:70]
	v_mul_f64 v[65:66], v[33:34], v[202:203]
	v_mul_f64 v[69:70], v[45:46], v[202:203]
	;; [unrolled: 1-line block ×3, first 2 shown]
	v_fma_f64 v[49:50], v[49:50], v[200:201], -v[100:101]
	v_fma_f64 v[51:52], v[51:52], v[200:201], v[102:103]
	v_fma_f64 v[33:34], v[33:34], v[200:201], -v[29:30]
	v_mul_f64 v[29:30], v[78:79], v[202:203]
	v_mul_f64 v[100:101], v[98:99], v[202:203]
	v_fma_f64 v[35:36], v[35:36], v[200:201], v[65:66]
	v_fma_f64 v[47:48], v[47:48], v[200:201], v[69:70]
	v_mul_f64 v[69:70], v[76:77], v[202:203]
	v_fma_f64 v[45:46], v[45:46], v[200:201], -v[67:68]
	v_fma_f64 v[65:66], v[72:73], v[200:201], -v[104:105]
	v_fma_f64 v[67:68], v[74:75], v[200:201], v[106:107]
	v_mul_f64 v[71:72], v[94:95], v[202:203]
	v_mul_f64 v[73:74], v[92:93], v[202:203]
	;; [unrolled: 1-line block ×3, first 2 shown]
	v_add_f64 v[13:14], v[17:18], -v[13:14]
	v_add_f64 v[15:16], v[19:20], -v[15:16]
	v_fma_f64 v[76:77], v[76:77], v[200:201], -v[29:30]
	v_add_f64 v[29:30], v[21:22], -v[25:26]
	v_add_f64 v[31:32], v[23:24], -v[31:32]
	v_fma_f64 v[69:70], v[78:79], v[200:201], v[69:70]
	v_add_f64 v[33:34], v[37:38], -v[33:34]
	v_add_f64 v[35:36], v[39:40], -v[35:36]
	v_fma_f64 v[92:93], v[92:93], v[200:201], -v[71:72]
	v_fma_f64 v[94:95], v[94:95], v[200:201], v[73:74]
	v_add_f64 v[45:46], v[41:42], -v[45:46]
	v_add_f64 v[47:48], v[43:44], -v[47:48]
	v_fma_f64 v[96:97], v[96:97], v[200:201], -v[100:101]
	v_fma_f64 v[98:99], v[98:99], v[200:201], v[102:103]
	v_fma_f64 v[17:18], v[17:18], 2.0, -v[13:14]
	v_fma_f64 v[19:20], v[19:20], 2.0, -v[15:16]
	v_add_f64 v[49:50], v[53:54], -v[49:50]
	v_add_f64 v[51:52], v[55:56], -v[51:52]
	v_fma_f64 v[21:22], v[21:22], 2.0, -v[29:30]
	v_fma_f64 v[23:24], v[23:24], 2.0, -v[31:32]
	v_add_f64 v[72:73], v[57:58], -v[65:66]
	v_add_f64 v[74:75], v[59:60], -v[67:68]
	;; [unrolled: 4-line block ×5, first 2 shown]
	ds_write_b128 v4, v[17:20]
	ds_write_b128 v4, v[13:16] offset:256
	v_and_or_b32 v4, v12, s0, v27
	v_lshl_add_u32 v4, v4, 4, v64
	s_movk_i32 s0, 0x3e0
	v_fma_f64 v[57:58], v[57:58], 2.0, -v[72:73]
	v_fma_f64 v[59:60], v[59:60], 2.0, -v[74:75]
	ds_write_b128 v4, v[21:24]
	buffer_store_dword v4, off, s[28:31], 0 offset:364 ; 4-byte Folded Spill
	ds_write_b128 v4, v[29:32] offset:256
	v_and_or_b32 v4, v11, s0, v27
	v_lshl_add_u32 v4, v4, 4, v64
	v_fma_f64 v[84:85], v[84:85], 2.0, -v[76:77]
	v_fma_f64 v[86:87], v[86:87], 2.0, -v[78:79]
	ds_write_b128 v4, v[37:40]
	buffer_store_dword v4, off, s[28:31], 0 offset:368 ; 4-byte Folded Spill
	ds_write_b128 v4, v[33:36] offset:256
	v_and_or_b32 v4, v10, s0, v27
	v_lshl_add_u32 v4, v4, 4, v64
	;; [unrolled: 7-line block ×3, first 2 shown]
	s_movk_i32 s0, 0x5e0
	v_fma_f64 v[80:81], v[80:81], 2.0, -v[96:97]
	v_fma_f64 v[82:83], v[82:83], 2.0, -v[98:99]
	ds_write_b128 v4, v[53:56]
	buffer_store_dword v4, off, s[28:31], 0 offset:376 ; 4-byte Folded Spill
	ds_write_b128 v4, v[49:52] offset:256
	v_and_or_b32 v4, v8, s0, v27
	v_lshl_add_u32 v4, v4, 4, v64
	ds_write_b128 v4, v[57:60]
	buffer_store_dword v4, off, s[28:31], 0 offset:380 ; 4-byte Folded Spill
	ds_write_b128 v4, v[72:75] offset:256
	v_and_or_b32 v4, v5, s1, v27
	v_lshl_add_u32 v4, v4, 4, v64
	;; [unrolled: 5-line block ×4, first 2 shown]
	ds_write_b128 v4, v[80:83]
	buffer_store_dword v4, off, s[28:31], 0 offset:392 ; 4-byte Folded Spill
	ds_write_b128 v4, v[96:99] offset:256
	v_and_b32_e32 v4, 31, v62
	v_lshlrev_b32_e32 v5, 5, v4
	s_waitcnt vmcnt(0) lgkmcnt(0)
	s_barrier
	global_load_dwordx4 v[160:163], v5, s[14:15] offset:480
	global_load_dwordx4 v[144:147], v5, s[14:15] offset:496
	v_and_b32_e32 v5, 31, v0
	v_lshlrev_b32_e32 v6, 5, v5
	global_load_dwordx4 v[164:167], v6, s[14:15] offset:480
	global_load_dwordx4 v[176:179], v6, s[14:15] offset:496
	v_lshlrev_b32_e32 v7, 5, v61
	global_load_dwordx2 v[82:83], v7, s[14:15] offset:480
	global_load_dwordx4 v[180:183], v6, s[14:15] offset:488
	v_and_b32_e32 v71, 31, v2
	v_lshlrev_b32_e32 v7, 5, v71
	global_load_dwordx4 v[220:223], v7, s[14:15] offset:480
	global_load_dwordx4 v[216:219], v7, s[14:15] offset:496
	global_load_dwordx2 v[96:97], v6, s[14:15] offset:504
	ds_read_b128 v[12:15], v63
	ds_read_b128 v[16:19], v63 offset:1792
	ds_read_b128 v[20:23], v63 offset:10752
	;; [unrolled: 1-line block ×13, first 2 shown]
	s_mov_b32 s0, 0xe8584caa
	s_mov_b32 s1, 0x3febb67a
	;; [unrolled: 1-line block ×3, first 2 shown]
	s_waitcnt vmcnt(8) lgkmcnt(11)
	v_mul_f64 v[6:7], v[22:23], v[162:163]
	v_mul_f64 v[8:9], v[20:21], v[162:163]
	s_waitcnt vmcnt(7) lgkmcnt(9)
	v_mul_f64 v[65:66], v[29:30], v[146:147]
	v_mul_f64 v[10:11], v[31:32], v[146:147]
	s_waitcnt lgkmcnt(7)
	v_mul_f64 v[69:70], v[37:38], v[162:163]
	s_waitcnt vmcnt(5)
	v_mul_f64 v[67:68], v[35:36], v[178:179]
	v_fma_f64 v[6:7], v[20:21], v[160:161], -v[6:7]
	v_mul_f64 v[20:21], v[26:27], v[166:167]
	v_fma_f64 v[31:32], v[31:32], v[144:145], v[65:66]
	v_mul_f64 v[65:66], v[39:40], v[162:163]
	v_fma_f64 v[8:9], v[22:23], v[160:161], v[8:9]
	v_mul_f64 v[22:23], v[24:25], v[166:167]
	v_fma_f64 v[10:11], v[29:30], v[144:145], -v[10:11]
	v_mul_f64 v[29:30], v[33:34], v[178:179]
	s_waitcnt vmcnt(3)
	v_fma_f64 v[33:34], v[33:34], v[182:183], -v[67:68]
	v_fma_f64 v[80:81], v[24:25], v[82:83], -v[20:21]
	buffer_store_dword v82, off, s[28:31], 0 offset:396 ; 4-byte Folded Spill
	s_nop 0
	buffer_store_dword v83, off, s[28:31], 0 offset:400 ; 4-byte Folded Spill
	v_fma_f64 v[65:66], v[37:38], v[160:161], -v[65:66]
	s_waitcnt vmcnt(3) lgkmcnt(4)
	v_mul_f64 v[37:38], v[51:52], v[218:219]
	v_mul_f64 v[20:21], v[47:48], v[146:147]
	;; [unrolled: 1-line block ×3, first 2 shown]
	v_fma_f64 v[35:36], v[35:36], v[182:183], v[29:30]
	v_mul_f64 v[29:30], v[41:42], v[222:223]
	v_fma_f64 v[67:68], v[39:40], v[160:161], v[69:70]
	s_waitcnt lgkmcnt(3)
	v_mul_f64 v[39:40], v[53:54], v[162:163]
	v_fma_f64 v[84:85], v[49:50], v[216:217], -v[37:38]
	s_waitcnt vmcnt(2) lgkmcnt(0)
	v_mul_f64 v[37:38], v[78:79], v[96:97]
	buffer_store_dword v96, off, s[28:31], 0 offset:352 ; 4-byte Folded Spill
	s_nop 0
	buffer_store_dword v97, off, s[28:31], 0 offset:356 ; 4-byte Folded Spill
	v_fma_f64 v[69:70], v[41:42], v[220:221], -v[24:25]
	v_mul_f64 v[24:25], v[74:75], v[146:147]
	v_fma_f64 v[90:91], v[55:56], v[160:161], v[39:40]
	v_add_f64 v[39:40], v[12:13], v[6:7]
	v_fma_f64 v[100:101], v[76:77], v[176:177], -v[37:38]
	v_fma_f64 v[92:93], v[72:73], v[144:145], -v[24:25]
	v_add_f64 v[24:25], v[6:7], v[10:11]
	v_add_f64 v[6:7], v[6:7], -v[10:11]
	v_fma_f64 v[24:25], v[24:25], -0.5, v[12:13]
	v_add_f64 v[12:13], v[39:40], v[10:11]
	v_add_f64 v[10:11], v[16:17], v[80:81]
	v_fma_f64 v[26:27], v[26:27], v[82:83], v[22:23]
	v_mul_f64 v[22:23], v[45:46], v[146:147]
	v_fma_f64 v[45:46], v[45:46], v[144:145], -v[20:21]
	v_mul_f64 v[20:21], v[49:50], v[218:219]
	v_fma_f64 v[82:83], v[43:44], v[220:221], v[29:30]
	v_mul_f64 v[29:30], v[57:58], v[180:181]
	v_add_f64 v[41:42], v[18:19], v[26:27]
	v_fma_f64 v[47:48], v[47:48], v[144:145], v[22:23]
	v_mul_f64 v[22:23], v[55:56], v[162:163]
	v_fma_f64 v[86:87], v[51:52], v[216:217], v[20:21]
	v_mul_f64 v[20:21], v[72:73], v[146:147]
	v_fma_f64 v[98:99], v[59:60], v[164:165], v[29:30]
	v_add_f64 v[29:30], v[8:9], -v[31:32]
	v_add_f64 v[39:40], v[26:27], -v[35:36]
	;; [unrolled: 1-line block ×3, first 2 shown]
	v_add_f64 v[49:50], v[67:68], v[47:48]
	v_fma_f64 v[88:89], v[53:54], v[160:161], -v[22:23]
	v_mul_f64 v[22:23], v[59:60], v[180:181]
	v_fma_f64 v[94:95], v[74:75], v[144:145], v[20:21]
	v_mul_f64 v[20:21], v[76:77], v[96:97]
	v_add_f64 v[55:56], v[82:83], -v[86:87]
	v_add_f64 v[59:60], v[69:70], -v[84:85]
	v_fma_f64 v[96:97], v[57:58], v[164:165], -v[22:23]
	v_add_f64 v[22:23], v[8:9], v[31:32]
	v_add_f64 v[8:9], v[14:15], v[8:9]
	v_fma_f64 v[102:103], v[78:79], v[176:177], v[20:21]
	v_fma_f64 v[20:21], v[29:30], s[0:1], v[24:25]
	;; [unrolled: 1-line block ×3, first 2 shown]
	v_fma_f64 v[37:38], v[22:23], -0.5, v[14:15]
	v_add_f64 v[22:23], v[80:81], v[33:34]
	v_add_f64 v[14:15], v[8:9], v[31:32]
	;; [unrolled: 1-line block ×3, first 2 shown]
	v_fma_f64 v[26:27], v[6:7], s[0:1], v[37:38]
	v_fma_f64 v[31:32], v[22:23], -0.5, v[16:17]
	v_fma_f64 v[22:23], v[6:7], s[2:3], v[37:38]
	v_fma_f64 v[6:7], v[8:9], -0.5, v[18:19]
	v_add_f64 v[8:9], v[80:81], -v[33:34]
	v_add_f64 v[16:17], v[10:11], v[33:34]
	v_add_f64 v[10:11], v[65:66], v[45:46]
	;; [unrolled: 1-line block ×3, first 2 shown]
	ds_read_b128 v[33:36], v63 offset:3584
	ds_read_b128 v[41:44], v63 offset:5376
	v_fma_f64 v[29:30], v[39:40], s[0:1], v[31:32]
	v_fma_f64 v[37:38], v[39:40], s[2:3], v[31:32]
	;; [unrolled: 1-line block ×4, first 2 shown]
	s_waitcnt lgkmcnt(1)
	v_fma_f64 v[6:7], v[10:11], -0.5, v[33:34]
	v_fma_f64 v[8:9], v[49:50], -0.5, v[35:36]
	v_add_f64 v[10:11], v[33:34], v[65:66]
	v_add_f64 v[49:50], v[67:68], -v[47:48]
	v_add_f64 v[35:36], v[35:36], v[67:68]
	ds_read_b128 v[72:75], v63 offset:7168
	ds_read_b128 v[76:79], v63 offset:8960
	v_add_f64 v[67:68], v[90:91], -v[94:95]
	s_waitcnt vmcnt(0) lgkmcnt(0)
	s_barrier
	v_add_f64 v[65:66], v[72:73], v[88:89]
	v_add_f64 v[33:34], v[10:11], v[45:46]
	v_fma_f64 v[45:46], v[49:50], s[0:1], v[6:7]
	v_fma_f64 v[49:50], v[49:50], s[2:3], v[6:7]
	v_add_f64 v[6:7], v[69:70], v[84:85]
	v_add_f64 v[35:36], v[35:36], v[47:48]
	v_fma_f64 v[47:48], v[51:52], s[2:3], v[8:9]
	v_fma_f64 v[51:52], v[51:52], s[0:1], v[8:9]
	v_add_f64 v[8:9], v[82:83], v[86:87]
	v_add_f64 v[10:11], v[41:42], v[69:70]
	v_fma_f64 v[6:7], v[6:7], -0.5, v[41:42]
	v_fma_f64 v[8:9], v[8:9], -0.5, v[43:44]
	v_add_f64 v[41:42], v[10:11], v[84:85]
	v_add_f64 v[10:11], v[74:75], v[90:91]
	;; [unrolled: 1-line block ×3, first 2 shown]
	v_fma_f64 v[53:54], v[55:56], s[0:1], v[6:7]
	v_fma_f64 v[57:58], v[55:56], s[2:3], v[6:7]
	v_add_f64 v[6:7], v[88:89], v[92:93]
	v_fma_f64 v[55:56], v[59:60], s[2:3], v[8:9]
	v_fma_f64 v[59:60], v[59:60], s[0:1], v[8:9]
	v_add_f64 v[8:9], v[90:91], v[94:95]
	v_add_f64 v[43:44], v[43:44], v[86:87]
	v_fma_f64 v[6:7], v[6:7], -0.5, v[72:73]
	v_add_f64 v[72:73], v[65:66], v[92:93]
	v_add_f64 v[65:66], v[76:77], v[96:97]
	v_fma_f64 v[8:9], v[8:9], -0.5, v[74:75]
	v_add_f64 v[74:75], v[10:11], v[94:95]
	v_add_f64 v[10:11], v[88:89], -v[92:93]
	v_fma_f64 v[80:81], v[67:68], s[0:1], v[6:7]
	v_fma_f64 v[84:85], v[67:68], s[2:3], v[6:7]
	v_add_f64 v[6:7], v[96:97], v[100:101]
	v_add_f64 v[67:68], v[98:99], -v[102:103]
	v_fma_f64 v[82:83], v[10:11], s[2:3], v[8:9]
	v_fma_f64 v[86:87], v[10:11], s[0:1], v[8:9]
	v_add_f64 v[8:9], v[98:99], v[102:103]
	v_add_f64 v[10:11], v[78:79], v[98:99]
	v_fma_f64 v[6:7], v[6:7], -0.5, v[76:77]
	v_add_f64 v[76:77], v[65:66], v[100:101]
	v_fma_f64 v[8:9], v[8:9], -0.5, v[78:79]
	v_add_f64 v[78:79], v[10:11], v[102:103]
	v_fma_f64 v[88:89], v[67:68], s[0:1], v[6:7]
	v_fma_f64 v[92:93], v[67:68], s[2:3], v[6:7]
	v_lshrrev_b32_e32 v6, 5, v62
	v_mul_u32_u24_e32 v6, 0x60, v6
	v_or_b32_e32 v6, v6, v4
	v_lshl_add_u32 v6, v6, 4, v64
	ds_write_b128 v6, v[12:15]
	ds_write_b128 v6, v[20:23] offset:512
	buffer_store_dword v6, off, s[28:31], 0 offset:328 ; 4-byte Folded Spill
	ds_write_b128 v6, v[24:27] offset:1024
	v_lshrrev_b32_e32 v6, 5, v3
	v_mul_u32_u24_e32 v6, 0x60, v6
	v_or_b32_e32 v6, v6, v61
	v_lshl_add_u32 v6, v6, 4, v64
	v_add_f64 v[10:11], v[96:97], -v[100:101]
	ds_write_b128 v6, v[16:19]
	ds_write_b128 v6, v[29:32] offset:512
	buffer_store_dword v6, off, s[28:31], 0 offset:332 ; 4-byte Folded Spill
	ds_write_b128 v6, v[37:40] offset:1024
	v_lshrrev_b32_e32 v6, 5, v28
	v_mul_u32_u24_e32 v6, 0x60, v6
	v_or_b32_e32 v6, v6, v4
	v_lshl_add_u32 v6, v6, 4, v64
	ds_write_b128 v6, v[33:36]
	ds_write_b128 v6, v[45:48] offset:512
	buffer_store_dword v6, off, s[28:31], 0 offset:336 ; 4-byte Folded Spill
	ds_write_b128 v6, v[49:52] offset:1024
	v_lshrrev_b32_e32 v6, 5, v2
	v_mul_u32_u24_e32 v6, 0x60, v6
	v_or_b32_e32 v6, v6, v71
	v_lshl_add_u32 v6, v6, 4, v64
	v_fma_f64 v[94:95], v[10:11], s[0:1], v[8:9]
	ds_write_b128 v6, v[41:44]
	ds_write_b128 v6, v[53:56] offset:512
	buffer_store_dword v6, off, s[28:31], 0 offset:340 ; 4-byte Folded Spill
	ds_write_b128 v6, v[57:60] offset:1024
	v_lshrrev_b32_e32 v6, 5, v1
	v_fma_f64 v[90:91], v[10:11], s[2:3], v[8:9]
	v_mul_u32_u24_e32 v6, 0x60, v6
	v_or_b32_e32 v4, v6, v4
	v_lshl_add_u32 v4, v4, 4, v64
	ds_write_b128 v4, v[72:75]
	ds_write_b128 v4, v[80:83] offset:512
	buffer_store_dword v4, off, s[28:31], 0 offset:344 ; 4-byte Folded Spill
	ds_write_b128 v4, v[84:87] offset:1024
	v_lshrrev_b32_e32 v4, 5, v0
	v_mul_u32_u24_e32 v4, 0x60, v4
	v_or_b32_e32 v4, v4, v5
	v_lshl_add_u32 v4, v4, 4, v64
	ds_write_b128 v4, v[76:79]
	ds_write_b128 v4, v[88:91] offset:512
	buffer_store_dword v4, off, s[28:31], 0 offset:348 ; 4-byte Folded Spill
	ds_write_b128 v4, v[92:95] offset:1024
	v_add_co_u32_e32 v4, vcc, s17, v62
	v_addc_co_u32_e64 v5, s[18:19], 0, -1, vcc
	v_cmp_gt_u16_e32 vcc, s16, v62
	v_cndmask_b32_e64 v9, v5, 0, vcc
	v_cndmask_b32_e32 v8, v4, v62, vcc
	v_lshlrev_b64 v[4:5], 5, v[8:9]
	v_mov_b32_e32 v7, s15
	v_add_co_u32_e32 v4, vcc, s14, v4
	v_addc_co_u32_e32 v5, vcc, v7, v5, vcc
	s_waitcnt vmcnt(0) lgkmcnt(0)
	s_barrier
	global_load_dwordx4 v[112:115], v[4:5], off offset:1520
	global_load_dwordx4 v[132:135], v[4:5], off offset:1504
	s_movk_i32 s17, 0xab
	v_mul_lo_u16_sdwa v4, v3, s17 dst_sel:DWORD dst_unused:UNUSED_PAD src0_sel:BYTE_0 src1_sel:DWORD
	v_lshrrev_b16_e32 v61, 14, v4
	v_mul_lo_u16_e32 v4, 0x60, v61
	v_sub_u16_e32 v96, v3, v4
	v_mov_b32_e32 v3, 5
	v_lshlrev_b32_sdwa v3, v3, v96 dst_sel:DWORD dst_unused:UNUSED_PAD src0_sel:DWORD src1_sel:BYTE_0
	global_load_dwordx4 v[116:119], v3, s[14:15] offset:1520
	global_load_dwordx4 v[136:139], v3, s[14:15] offset:1504
	s_mov_b32 s17, 0xaaab
	v_mul_u32_u24_sdwa v3, v28, s17 dst_sel:DWORD dst_unused:UNUSED_PAD src0_sel:WORD_0 src1_sel:DWORD
	v_lshrrev_b32_e32 v97, 22, v3
	v_mul_lo_u16_e32 v3, 0x60, v97
	v_sub_u16_e32 v98, v28, v3
	v_lshlrev_b16_e32 v3, 5, v98
	v_add_co_u32_e32 v3, vcc, s14, v3
	v_addc_co_u32_e32 v4, vcc, 0, v7, vcc
	global_load_dwordx4 v[148:151], v[3:4], off offset:1504
	global_load_dwordx4 v[140:143], v[3:4], off offset:1520
	ds_read_b128 v[3:6], v63 offset:10752
	ds_read_b128 v[12:15], v63 offset:12544
	;; [unrolled: 1-line block ×6, first 2 shown]
	s_waitcnt vmcnt(5) lgkmcnt(3)
	v_mul_f64 v[35:36], v[18:19], v[114:115]
	s_waitcnt vmcnt(4)
	v_mul_f64 v[9:10], v[5:6], v[134:135]
	v_mul_f64 v[33:34], v[3:4], v[134:135]
	v_mul_f64 v[37:38], v[16:17], v[114:115]
	v_fma_f64 v[35:36], v[16:17], v[112:113], -v[35:36]
	v_fma_f64 v[9:10], v[3:4], v[132:133], -v[9:10]
	v_fma_f64 v[33:34], v[5:6], v[132:133], v[33:34]
	s_waitcnt vmcnt(2)
	v_mul_f64 v[3:4], v[14:15], v[138:139]
	v_mul_f64 v[5:6], v[12:13], v[138:139]
	s_waitcnt lgkmcnt(2)
	v_mul_f64 v[16:17], v[20:21], v[118:119]
	v_fma_f64 v[37:38], v[18:19], v[112:113], v[37:38]
	v_mul_f64 v[39:40], v[22:23], v[118:119]
	v_fma_f64 v[43:44], v[12:13], v[136:137], -v[3:4]
	v_fma_f64 v[45:46], v[14:15], v[136:137], v[5:6]
	ds_read_b128 v[3:6], v63 offset:25088
	ds_read_b128 v[12:15], v63 offset:26880
	s_waitcnt vmcnt(1) lgkmcnt(3)
	v_mul_f64 v[18:19], v[26:27], v[150:151]
	v_fma_f64 v[47:48], v[22:23], v[116:117], v[16:17]
	v_fma_f64 v[39:40], v[20:21], v[116:117], -v[39:40]
	s_waitcnt vmcnt(0) lgkmcnt(1)
	v_mul_f64 v[16:17], v[5:6], v[142:143]
	v_add_f64 v[20:21], v[33:34], -v[37:38]
	v_mul_f64 v[41:42], v[24:25], v[150:151]
	v_fma_f64 v[49:50], v[24:25], v[148:149], -v[18:19]
	v_mul_f64 v[18:19], v[3:4], v[142:143]
	v_fma_f64 v[51:52], v[3:4], v[140:141], -v[16:17]
	v_mul_u32_u24_sdwa v3, v2, s17 dst_sel:DWORD dst_unused:UNUSED_PAD src0_sel:WORD_0 src1_sel:DWORD
	v_lshrrev_b32_e32 v99, 22, v3
	v_mul_lo_u16_e32 v3, 0x60, v99
	v_sub_u16_e32 v100, v2, v3
	v_lshlrev_b16_e32 v2, 5, v100
	v_add_co_u32_e32 v2, vcc, s14, v2
	v_addc_co_u32_e32 v3, vcc, 0, v7, vcc
	global_load_dwordx4 v[184:187], v[2:3], off offset:1504
	global_load_dwordx4 v[188:191], v[2:3], off offset:1520
	v_fma_f64 v[53:54], v[5:6], v[140:141], v[18:19]
	v_fma_f64 v[41:42], v[26:27], v[148:149], v[41:42]
	s_waitcnt vmcnt(1)
	v_mul_f64 v[4:5], v[31:32], v[186:187]
	s_waitcnt vmcnt(0) lgkmcnt(0)
	v_mul_f64 v[2:3], v[14:15], v[190:191]
	v_fma_f64 v[55:56], v[29:30], v[184:185], -v[4:5]
	v_fma_f64 v[59:60], v[12:13], v[188:189], -v[2:3]
	v_mul_f64 v[2:3], v[12:13], v[190:191]
	v_mul_f64 v[4:5], v[29:30], v[186:187]
	v_fma_f64 v[65:66], v[14:15], v[188:189], v[2:3]
	v_mul_u32_u24_sdwa v2, v1, s17 dst_sel:DWORD dst_unused:UNUSED_PAD src0_sel:WORD_0 src1_sel:DWORD
	v_lshrrev_b32_e32 v101, 22, v2
	v_mul_lo_u16_e32 v2, 0x60, v101
	v_sub_u16_e32 v102, v1, v2
	v_lshlrev_b16_e32 v1, 5, v102
	v_fma_f64 v[57:58], v[31:32], v[184:185], v[4:5]
	v_add_co_u32_e32 v5, vcc, s14, v1
	v_addc_co_u32_e32 v6, vcc, 0, v7, vcc
	global_load_dwordx4 v[192:195], v[5:6], off offset:1504
	ds_read_b128 v[1:4], v63 offset:17920
	ds_read_b128 v[12:15], v63 offset:19712
	global_load_dwordx4 v[196:199], v[5:6], off offset:1520
	v_add_f64 v[31:32], v[43:44], -v[39:40]
	s_waitcnt vmcnt(1) lgkmcnt(1)
	v_mul_f64 v[16:17], v[3:4], v[194:195]
	v_fma_f64 v[67:68], v[1:2], v[192:193], -v[16:17]
	v_mul_f64 v[1:2], v[1:2], v[194:195]
	v_fma_f64 v[69:70], v[3:4], v[192:193], v[1:2]
	ds_read_b128 v[1:4], v63 offset:28672
	ds_read_b128 v[16:19], v63 offset:30464
	s_waitcnt vmcnt(0) lgkmcnt(1)
	v_mul_f64 v[5:6], v[3:4], v[198:199]
	v_fma_f64 v[76:77], v[1:2], v[196:197], -v[5:6]
	v_mul_f64 v[1:2], v[1:2], v[198:199]
	v_fma_f64 v[71:72], v[3:4], v[196:197], v[1:2]
	v_mul_u32_u24_sdwa v1, v0, s17 dst_sel:DWORD dst_unused:UNUSED_PAD src0_sel:WORD_0 src1_sel:DWORD
	v_lshrrev_b32_e32 v103, 22, v1
	v_mul_lo_u16_e32 v1, 0x60, v103
	v_sub_u16_e32 v104, v0, v1
	v_lshlrev_b16_e32 v0, 5, v104
	v_add_co_u32_e32 v0, vcc, s14, v0
	v_addc_co_u32_e32 v1, vcc, 0, v7, vcc
	global_load_dwordx4 v[204:207], v[0:1], off offset:1504
	global_load_dwordx4 v[208:211], v[0:1], off offset:1520
	s_waitcnt vmcnt(1)
	v_mul_f64 v[2:3], v[14:15], v[206:207]
	s_waitcnt vmcnt(0) lgkmcnt(0)
	v_mul_f64 v[0:1], v[18:19], v[210:211]
	v_fma_f64 v[80:81], v[12:13], v[204:205], -v[2:3]
	v_mul_f64 v[2:3], v[12:13], v[206:207]
	v_fma_f64 v[84:85], v[16:17], v[208:209], -v[0:1]
	v_mul_f64 v[0:1], v[16:17], v[210:211]
	v_add_f64 v[11:12], v[9:10], v[35:36]
	v_fma_f64 v[82:83], v[14:15], v[204:205], v[2:3]
	v_fma_f64 v[86:87], v[18:19], v[208:209], v[0:1]
	ds_read_b128 v[0:3], v63
	ds_read_b128 v[4:7], v63 offset:1792
	s_waitcnt lgkmcnt(1)
	v_fma_f64 v[18:19], v[11:12], -0.5, v[0:1]
	v_add_f64 v[11:12], v[33:34], v[37:38]
	v_add_f64 v[0:1], v[0:1], v[9:10]
	v_fma_f64 v[16:17], v[20:21], s[0:1], v[18:19]
	v_fma_f64 v[22:23], v[11:12], -0.5, v[2:3]
	v_add_f64 v[12:13], v[0:1], v[35:36]
	v_add_f64 v[0:1], v[9:10], -v[35:36]
	v_add_f64 v[2:3], v[2:3], v[33:34]
	v_fma_f64 v[20:21], v[20:21], s[2:3], v[18:19]
	v_add_f64 v[9:10], v[45:46], -v[47:48]
	v_fma_f64 v[18:19], v[0:1], s[2:3], v[22:23]
	v_fma_f64 v[22:23], v[0:1], s[0:1], v[22:23]
	v_add_f64 v[0:1], v[43:44], v[39:40]
	v_add_f64 v[14:15], v[2:3], v[37:38]
	;; [unrolled: 1-line block ×4, first 2 shown]
	s_waitcnt lgkmcnt(0)
	v_fma_f64 v[0:1], v[0:1], -0.5, v[4:5]
	v_add_f64 v[4:5], v[4:5], v[43:44]
	v_fma_f64 v[2:3], v[2:3], -0.5, v[6:7]
	v_add_f64 v[6:7], v[6:7], v[45:46]
	v_add_f64 v[43:44], v[41:42], -v[53:54]
	v_fma_f64 v[24:25], v[9:10], s[0:1], v[0:1]
	v_fma_f64 v[29:30], v[9:10], s[2:3], v[0:1]
	v_add_f64 v[9:10], v[49:50], v[51:52]
	v_fma_f64 v[26:27], v[31:32], s[2:3], v[2:3]
	v_fma_f64 v[31:32], v[31:32], s[0:1], v[2:3]
	ds_read_b128 v[0:3], v63 offset:3584
	ds_read_b128 v[33:36], v63 offset:5376
	v_add_f64 v[6:7], v[6:7], v[47:48]
	v_add_f64 v[4:5], v[4:5], v[39:40]
	s_waitcnt lgkmcnt(1)
	v_fma_f64 v[47:48], v[37:38], -0.5, v[2:3]
	v_fma_f64 v[9:10], v[9:10], -0.5, v[0:1]
	v_add_f64 v[0:1], v[0:1], v[49:50]
	v_add_f64 v[2:3], v[2:3], v[41:42]
	v_fma_f64 v[41:42], v[43:44], s[0:1], v[9:10]
	v_add_f64 v[37:38], v[0:1], v[51:52]
	v_add_f64 v[0:1], v[49:50], -v[51:52]
	v_add_f64 v[39:40], v[2:3], v[53:54]
	v_fma_f64 v[45:46], v[43:44], s[2:3], v[9:10]
	v_add_f64 v[2:3], v[57:58], v[65:66]
	s_waitcnt lgkmcnt(0)
	v_add_f64 v[9:10], v[35:36], v[57:58]
	v_add_f64 v[51:52], v[57:58], -v[65:66]
	v_fma_f64 v[43:44], v[0:1], s[2:3], v[47:48]
	v_fma_f64 v[47:48], v[0:1], s[0:1], v[47:48]
	v_add_f64 v[0:1], v[55:56], v[59:60]
	v_fma_f64 v[2:3], v[2:3], -0.5, v[35:36]
	v_add_f64 v[35:36], v[9:10], v[65:66]
	v_add_f64 v[9:10], v[55:56], -v[59:60]
	v_add_f64 v[65:66], v[69:70], v[71:72]
	v_fma_f64 v[0:1], v[0:1], -0.5, v[33:34]
	v_add_f64 v[33:34], v[33:34], v[55:56]
	v_fma_f64 v[55:56], v[9:10], s[0:1], v[2:3]
	v_fma_f64 v[49:50], v[51:52], s[0:1], v[0:1]
	;; [unrolled: 1-line block ×4, first 2 shown]
	v_add_f64 v[9:10], v[67:68], v[76:77]
	v_add_f64 v[33:34], v[33:34], v[59:60]
	ds_read_b128 v[0:3], v63 offset:7168
	ds_read_b128 v[57:60], v63 offset:8960
	s_waitcnt lgkmcnt(0)
	s_barrier
	v_fma_f64 v[65:66], v[65:66], -0.5, v[2:3]
	v_add_f64 v[2:3], v[2:3], v[69:70]
	v_fma_f64 v[9:10], v[9:10], -0.5, v[0:1]
	v_add_f64 v[0:1], v[0:1], v[67:68]
	v_add_f64 v[69:70], v[69:70], -v[71:72]
	v_add_f64 v[74:75], v[2:3], v[71:72]
	v_add_f64 v[2:3], v[82:83], v[86:87]
	;; [unrolled: 1-line block ×3, first 2 shown]
	v_add_f64 v[0:1], v[67:68], -v[76:77]
	v_fma_f64 v[76:77], v[69:70], s[0:1], v[9:10]
	v_fma_f64 v[236:237], v[69:70], s[2:3], v[9:10]
	v_add_f64 v[9:10], v[59:60], v[82:83]
	v_fma_f64 v[2:3], v[2:3], -0.5, v[59:60]
	v_add_f64 v[59:60], v[82:83], -v[86:87]
	v_fma_f64 v[78:79], v[0:1], s[2:3], v[65:66]
	v_fma_f64 v[238:239], v[0:1], s[0:1], v[65:66]
	v_add_f64 v[0:1], v[80:81], v[84:85]
	v_add_f64 v[90:91], v[9:10], v[86:87]
	v_add_f64 v[9:10], v[80:81], -v[84:85]
	v_fma_f64 v[0:1], v[0:1], -0.5, v[57:58]
	v_add_f64 v[57:58], v[57:58], v[80:81]
	v_fma_f64 v[94:95], v[9:10], s[2:3], v[2:3]
	v_fma_f64 v[2:3], v[9:10], s[0:1], v[2:3]
	v_mov_b32_e32 v9, 0x120
	v_fma_f64 v[92:93], v[59:60], s[0:1], v[0:1]
	s_movk_i32 s0, 0x5f
	v_cmp_lt_u16_e32 vcc, s0, v62
	v_cndmask_b32_e32 v9, 0, v9, vcc
	v_add_u32_e32 v8, v8, v9
	v_lshl_add_u32 v8, v8, 4, v64
	ds_write_b128 v8, v[12:15]
	ds_write_b128 v8, v[16:19] offset:1536
	buffer_store_dword v8, off, s[28:31], 0 offset:304 ; 4-byte Folded Spill
	ds_write_b128 v8, v[20:23] offset:3072
	v_mul_u32_u24_e32 v8, 0x120, v61
	v_add_u32_sdwa v8, v8, v96 dst_sel:DWORD dst_unused:UNUSED_PAD src0_sel:DWORD src1_sel:BYTE_0
	v_add_f64 v[88:89], v[57:58], v[84:85]
	v_fma_f64 v[0:1], v[59:60], s[2:3], v[0:1]
	v_lshl_add_u32 v8, v8, 4, v64
	s_movk_i32 s0, 0x120
	ds_write_b128 v8, v[4:7]
	ds_write_b128 v8, v[24:27] offset:1536
	v_mad_legacy_u16 v4, v97, s0, v98
	v_lshl_add_u32 v4, v4, 4, v64
	buffer_store_dword v8, off, s[28:31], 0 offset:308 ; 4-byte Folded Spill
	ds_write_b128 v8, v[29:32] offset:3072
	ds_write_b128 v4, v[37:40]
	ds_write_b128 v4, v[41:44] offset:1536
	buffer_store_dword v4, off, s[28:31], 0 offset:312 ; 4-byte Folded Spill
	ds_write_b128 v4, v[45:48] offset:3072
	v_mad_legacy_u16 v4, v99, s0, v100
	v_lshl_add_u32 v4, v4, 4, v64
	ds_write_b128 v4, v[33:36]
	ds_write_b128 v4, v[49:52] offset:1536
	buffer_store_dword v4, off, s[28:31], 0 offset:316 ; 4-byte Folded Spill
	ds_write_b128 v4, v[53:56] offset:3072
	v_mad_legacy_u16 v4, v101, s0, v102
	v_lshl_add_u32 v5, v4, 4, v64
	v_mad_legacy_u16 v4, v103, s0, v104
	v_lshl_add_u32 v4, v4, 4, v64
	ds_write_b128 v5, v[72:75]
	ds_write_b128 v5, v[76:79] offset:1536
	buffer_store_dword v5, off, s[28:31], 0 offset:320 ; 4-byte Folded Spill
	ds_write_b128 v5, v[236:239] offset:3072
	ds_write_b128 v4, v[88:91]
	ds_write_b128 v4, v[92:95] offset:1536
	buffer_store_dword v4, off, s[28:31], 0 offset:324 ; 4-byte Folded Spill
	ds_write_b128 v4, v[0:3] offset:3072
	s_waitcnt vmcnt(0) lgkmcnt(0)
	s_barrier
	ds_read_b128 v[244:247], v63
	ds_read_b128 v[240:243], v63 offset:1792
	ds_read_b128 v[172:175], v63 offset:4608
	;; [unrolled: 1-line block ×13, first 2 shown]
	s_load_dwordx2 s[2:3], s[4:5], 0x38
	v_cmp_gt_u16_e32 vcc, 64, v62
                                        ; implicit-def: $vgpr4_vgpr5
	s_and_saveexec_b64 s[0:1], vcc
	s_cbranch_execz .LBB0_3
; %bb.2:
	ds_read_b128 v[236:239], v63 offset:3584
	ds_read_b128 v[88:91], v63 offset:8192
	ds_read_b128 v[92:95], v63 offset:12800
	ds_read_b128 v[0:3], v63 offset:17408
	ds_read_b128 v[4:7], v63 offset:22016
	ds_read_b128 v[248:251], v63 offset:26624
	ds_read_b128 v[252:255], v63 offset:31232
.LBB0_3:
	s_or_b64 exec, exec, s[0:1]
	v_mov_b32_e32 v8, s14
	v_mov_b32_e32 v9, s15
	v_mad_u64_u32 v[8:9], s[0:1], v62, s16, v[8:9]
	s_movk_i32 s4, 0x11e0
	s_movk_i32 s5, 0x1220
	v_add_co_u32_e64 v10, s[0:1], s4, v8
	v_addc_co_u32_e64 v11, s[0:1], 0, v9, s[0:1]
	v_add_co_u32_e64 v12, s[0:1], s7, v8
	v_addc_co_u32_e64 v13, s[0:1], 0, v9, s[0:1]
	global_load_dwordx4 v[100:103], v[12:13], off offset:480
	global_load_dwordx4 v[96:99], v[10:11], off offset:48
	;; [unrolled: 1-line block ×4, first 2 shown]
	s_mov_b32 s16, 0xaaaaaaaa
	s_mov_b32 s18, 0x5476071b
	;; [unrolled: 1-line block ×12, first 2 shown]
	s_waitcnt vmcnt(3) lgkmcnt(0)
	v_mul_f64 v[10:11], v[174:175], v[102:103]
	v_fma_f64 v[38:39], v[172:173], v[100:101], -v[10:11]
	v_mul_f64 v[10:11], v[172:173], v[102:103]
	v_fma_f64 v[44:45], v[174:175], v[100:101], v[10:11]
	s_waitcnt vmcnt(0)
	v_mul_f64 v[10:11], v[170:171], v[110:111]
	v_fma_f64 v[40:41], v[168:169], v[108:109], -v[10:11]
	v_mul_f64 v[10:11], v[168:169], v[110:111]
	v_fma_f64 v[46:47], v[170:171], v[108:109], v[10:11]
	v_mul_f64 v[10:11], v[130:131], v[106:107]
	v_fma_f64 v[42:43], v[128:129], v[104:105], -v[10:11]
	v_mul_f64 v[10:11], v[128:129], v[106:107]
	v_fma_f64 v[48:49], v[130:131], v[104:105], v[10:11]
	;; [unrolled: 4-line block ×3, first 2 shown]
	v_add_co_u32_e64 v10, s[0:1], s5, v8
	v_addc_co_u32_e64 v11, s[0:1], 0, v9, s[0:1]
	global_load_dwordx4 v[120:123], v[12:13], off offset:544
	global_load_dwordx4 v[128:131], v[10:11], off offset:16
	s_movk_i32 s0, 0x3be0
	s_waitcnt vmcnt(1)
	v_mul_f64 v[12:13], v[156:157], v[122:123]
	v_mul_f64 v[10:11], v[158:159], v[122:123]
	v_fma_f64 v[65:66], v[158:159], v[120:121], v[12:13]
	s_waitcnt vmcnt(0)
	v_mul_f64 v[12:13], v[154:155], v[130:131]
	v_fma_f64 v[10:11], v[156:157], v[120:121], -v[10:11]
	v_fma_f64 v[67:68], v[152:153], v[128:129], -v[12:13]
	v_mul_f64 v[12:13], v[152:153], v[130:131]
	v_fma_f64 v[69:70], v[154:155], v[128:129], v[12:13]
	v_add_co_u32_e64 v12, s[0:1], s0, v8
	v_addc_co_u32_e64 v13, s[0:1], 0, v9, s[0:1]
	v_add_co_u32_e64 v29, s[0:1], s6, v8
	v_addc_co_u32_e64 v30, s[0:1], 0, v9, s[0:1]
	global_load_dwordx4 v[168:171], v[29:30], off offset:3040
	global_load_dwordx4 v[152:155], v[12:13], off offset:48
	;; [unrolled: 1-line block ×4, first 2 shown]
	s_movk_i32 s0, 0x3c20
	v_add_co_u32_e64 v8, s[0:1], s0, v8
	v_addc_co_u32_e64 v9, s[0:1], 0, v9, s[0:1]
	s_waitcnt vmcnt(3)
	v_mul_f64 v[14:15], v[212:213], v[170:171]
	v_mul_f64 v[12:13], v[214:215], v[170:171]
	s_waitcnt vmcnt(1)
	v_mul_f64 v[22:23], v[84:85], v[158:159]
	s_waitcnt vmcnt(0)
	v_mul_f64 v[16:17], v[124:125], v[174:175]
	v_mul_f64 v[24:25], v[82:83], v[154:155]
	;; [unrolled: 1-line block ×3, first 2 shown]
	v_fma_f64 v[18:19], v[214:215], v[168:169], v[14:15]
	v_mul_f64 v[14:15], v[126:127], v[174:175]
	v_fma_f64 v[12:13], v[212:213], v[168:169], -v[12:13]
	v_fma_f64 v[20:21], v[126:127], v[172:173], v[16:17]
	v_mul_f64 v[16:17], v[86:87], v[158:159]
	v_fma_f64 v[22:23], v[86:87], v[156:157], v[22:23]
	v_fma_f64 v[24:25], v[80:81], v[152:153], -v[24:25]
	v_fma_f64 v[26:27], v[82:83], v[152:153], v[26:27]
	v_fma_f64 v[14:15], v[124:125], v[172:173], -v[14:15]
	global_load_dwordx4 v[212:215], v[29:30], off offset:3104
	global_load_dwordx4 v[124:127], v[8:9], off offset:16
	v_fma_f64 v[16:17], v[84:85], v[156:157], -v[16:17]
	s_waitcnt vmcnt(1)
	v_mul_f64 v[8:9], v[78:79], v[214:215]
	v_fma_f64 v[54:55], v[76:77], v[212:213], -v[8:9]
	v_mul_f64 v[8:9], v[76:77], v[214:215]
	v_fma_f64 v[56:57], v[78:79], v[212:213], v[8:9]
	s_waitcnt vmcnt(0)
	v_mul_f64 v[8:9], v[74:75], v[126:127]
	v_fma_f64 v[58:59], v[72:73], v[124:125], -v[8:9]
	v_mul_f64 v[8:9], v[72:73], v[126:127]
	v_fma_f64 v[60:61], v[74:75], v[124:125], v[8:9]
	v_subrev_u32_e32 v8, 64, v62
	v_cndmask_b32_e32 v8, v8, v28, vcc
	v_mul_hi_i32_i24_e32 v9, 0x60, v8
	v_mul_i32_i24_e32 v8, 0x60, v8
	v_add_co_u32_e64 v73, s[0:1], s14, v8
	v_mov_b32_e32 v8, s15
	v_addc_co_u32_e64 v74, s[0:1], v8, v9, s[0:1]
	v_add_co_u32_e64 v8, s[0:1], s4, v73
	v_addc_co_u32_e64 v9, s[0:1], 0, v74, s[0:1]
	v_add_co_u32_e64 v71, s[0:1], s7, v73
	v_addc_co_u32_e64 v72, s[0:1], 0, v74, s[0:1]
	global_load_dwordx4 v[30:33], v[71:72], off offset:480
	global_load_dwordx4 v[75:78], v[8:9], off offset:48
	;; [unrolled: 1-line block ×4, first 2 shown]
	s_mov_b32 s14, 0xe976ee23
	s_mov_b32 s6, 0x429ad128
	s_mov_b32 s15, 0xbfe11646
	s_mov_b32 s7, 0x3febfeb5
	s_waitcnt vmcnt(3)
	v_mul_f64 v[8:9], v[90:91], v[32:33]
	v_fma_f64 v[28:29], v[88:89], v[30:31], -v[8:9]
	v_mul_f64 v[8:9], v[88:89], v[32:33]
	buffer_store_dword v30, off, s[28:31], 0 offset:572 ; 4-byte Folded Spill
	s_nop 0
	buffer_store_dword v31, off, s[28:31], 0 offset:576 ; 4-byte Folded Spill
	buffer_store_dword v32, off, s[28:31], 0 offset:580 ; 4-byte Folded Spill
	;; [unrolled: 1-line block ×3, first 2 shown]
	v_fma_f64 v[34:35], v[90:91], v[30:31], v[8:9]
	s_waitcnt vmcnt(4)
	v_mul_f64 v[8:9], v[94:95], v[85:86]
	v_fma_f64 v[30:31], v[92:93], v[83:84], -v[8:9]
	v_mul_f64 v[8:9], v[92:93], v[85:86]
	buffer_store_dword v83, off, s[28:31], 0 offset:604 ; 4-byte Folded Spill
	s_nop 0
	buffer_store_dword v84, off, s[28:31], 0 offset:608 ; 4-byte Folded Spill
	buffer_store_dword v85, off, s[28:31], 0 offset:612 ; 4-byte Folded Spill
	buffer_store_dword v86, off, s[28:31], 0 offset:616 ; 4-byte Folded Spill
	v_fma_f64 v[36:37], v[94:95], v[83:84], v[8:9]
	v_mul_f64 v[8:9], v[2:3], v[81:82]
	v_fma_f64 v[32:33], v[0:1], v[79:80], -v[8:9]
	v_mul_f64 v[0:1], v[0:1], v[81:82]
	buffer_store_dword v79, off, s[28:31], 0 offset:588 ; 4-byte Folded Spill
	s_nop 0
	buffer_store_dword v80, off, s[28:31], 0 offset:592 ; 4-byte Folded Spill
	buffer_store_dword v81, off, s[28:31], 0 offset:596 ; 4-byte Folded Spill
	buffer_store_dword v82, off, s[28:31], 0 offset:600 ; 4-byte Folded Spill
	v_fma_f64 v[0:1], v[2:3], v[79:80], v[0:1]
	;; [unrolled: 9-line block ×3, first 2 shown]
	v_add_co_u32_e64 v6, s[0:1], s5, v73
	v_addc_co_u32_e64 v7, s[0:1], 0, v74, s[0:1]
	global_load_dwordx4 v[71:74], v[71:72], off offset:544
	s_nop 0
	global_load_dwordx4 v[92:95], v[6:7], off offset:16
	s_mov_b32 s4, 0x37e14327
	s_mov_b32 s0, 0x36b3c0b5
	;; [unrolled: 1-line block ×4, first 2 shown]
	s_waitcnt vmcnt(1)
	v_mul_f64 v[6:7], v[250:251], v[73:74]
	v_mul_f64 v[8:9], v[248:249], v[73:74]
	v_fma_f64 v[6:7], v[248:249], v[71:72], -v[6:7]
	buffer_store_dword v71, off, s[28:31], 0 offset:620 ; 4-byte Folded Spill
	s_nop 0
	buffer_store_dword v72, off, s[28:31], 0 offset:624 ; 4-byte Folded Spill
	buffer_store_dword v73, off, s[28:31], 0 offset:628 ; 4-byte Folded Spill
	;; [unrolled: 1-line block ×3, first 2 shown]
	v_fma_f64 v[77:78], v[250:251], v[71:72], v[8:9]
	s_waitcnt vmcnt(4)
	v_mul_f64 v[8:9], v[254:255], v[94:95]
	v_add_f64 v[71:72], v[44:45], v[69:70]
	v_add_f64 v[44:45], v[44:45], -v[69:70]
	v_add_f64 v[69:70], v[46:47], v[65:66]
	v_fma_f64 v[79:80], v[252:253], v[92:93], -v[8:9]
	v_mul_f64 v[8:9], v[252:253], v[94:95]
	v_add_f64 v[75:76], v[69:70], -v[71:72]
	v_fma_f64 v[81:82], v[254:255], v[92:93], v[8:9]
	v_add_f64 v[8:9], v[38:39], v[67:68]
	v_add_f64 v[38:39], v[38:39], -v[67:68]
	v_add_f64 v[67:68], v[40:41], v[10:11]
	v_add_f64 v[10:11], v[40:41], -v[10:11]
	v_add_f64 v[40:41], v[46:47], -v[65:66]
	v_add_f64 v[46:47], v[42:43], v[50:51]
	v_add_f64 v[65:66], v[48:49], v[52:53]
	v_add_f64 v[42:43], v[50:51], -v[42:43]
	v_add_f64 v[48:49], v[52:53], -v[48:49]
	v_add_f64 v[52:53], v[69:70], v[71:72]
	v_add_f64 v[50:51], v[67:68], v[8:9]
	v_add_f64 v[73:74], v[67:68], -v[8:9]
	v_add_f64 v[83:84], v[40:41], -v[44:45]
	v_add_f64 v[8:9], v[8:9], -v[46:47]
	v_add_f64 v[71:72], v[71:72], -v[65:66]
	v_add_f64 v[67:68], v[46:47], -v[67:68]
	v_add_f64 v[69:70], v[65:66], -v[69:70]
	v_add_f64 v[248:249], v[42:43], v[10:11]
	v_add_f64 v[250:251], v[48:49], v[40:41]
	v_add_f64 v[252:253], v[42:43], -v[10:11]
	v_add_f64 v[254:255], v[48:49], -v[40:41]
	v_add_f64 v[46:47], v[46:47], v[50:51]
	v_add_f64 v[50:51], v[65:66], v[52:53]
	v_add_f64 v[42:43], v[38:39], -v[42:43]
	v_add_f64 v[48:49], v[44:45], -v[48:49]
	;; [unrolled: 1-line block ×3, first 2 shown]
	v_add_f64 v[52:53], v[248:249], v[38:39]
	v_add_f64 v[44:45], v[250:251], v[44:45]
	v_mul_f64 v[8:9], v[8:9], s[4:5]
	v_add_f64 v[38:39], v[244:245], v[46:47]
	v_add_f64 v[40:41], v[246:247], v[50:51]
	v_mul_f64 v[65:66], v[71:72], s[4:5]
	v_mul_f64 v[85:86], v[69:70], s[0:1]
	;; [unrolled: 1-line block ×7, first 2 shown]
	v_fma_f64 v[46:47], v[46:47], s[16:17], v[38:39]
	v_fma_f64 v[50:51], v[50:51], s[16:17], v[40:41]
	;; [unrolled: 1-line block ×4, first 2 shown]
	v_fma_f64 v[85:86], v[75:76], s[18:19], -v[85:86]
	v_fma_f64 v[8:9], v[73:74], s[22:23], -v[8:9]
	;; [unrolled: 1-line block ×3, first 2 shown]
	v_fma_f64 v[75:76], v[48:49], s[24:25], v[246:247]
	v_fma_f64 v[10:11], v[10:11], s[6:7], -v[244:245]
	v_fma_f64 v[48:49], v[48:49], s[26:27], -v[250:251]
	;; [unrolled: 1-line block ×3, first 2 shown]
	v_fma_f64 v[73:74], v[42:43], s[24:25], v[244:245]
	v_fma_f64 v[83:84], v[83:84], s[6:7], -v[246:247]
	v_fma_f64 v[42:43], v[42:43], s[26:27], -v[248:249]
	v_add_f64 v[85:86], v[85:86], v[50:51]
	v_add_f64 v[8:9], v[8:9], v[46:47]
	v_fma_f64 v[10:11], v[52:53], s[20:21], v[10:11]
	v_fma_f64 v[246:247], v[44:45], s[20:21], v[48:49]
	v_add_f64 v[67:68], v[67:68], v[46:47]
	v_add_f64 v[71:72], v[71:72], v[46:47]
	v_fma_f64 v[73:74], v[52:53], s[20:21], v[73:74]
	v_fma_f64 v[244:245], v[52:53], s[20:21], v[42:43]
	v_add_f64 v[69:70], v[69:70], v[50:51]
	v_add_f64 v[65:66], v[65:66], v[50:51]
	;; [unrolled: 1-line block ×4, first 2 shown]
	v_add_f64 v[250:251], v[85:86], -v[10:11]
	v_add_f64 v[252:253], v[8:9], -v[246:247]
	v_add_f64 v[8:9], v[12:13], v[58:59]
	v_add_f64 v[10:11], v[18:19], v[60:61]
	v_add_f64 v[12:13], v[12:13], -v[58:59]
	v_add_f64 v[18:19], v[18:19], -v[60:61]
	v_add_f64 v[58:59], v[14:15], v[54:55]
	v_add_f64 v[60:61], v[20:21], v[56:57]
	v_fma_f64 v[75:76], v[44:45], s[20:21], v[75:76]
	v_fma_f64 v[83:84], v[44:45], s[20:21], v[83:84]
	v_add_f64 v[14:15], v[14:15], -v[54:55]
	v_add_f64 v[20:21], v[20:21], -v[56:57]
	v_add_f64 v[54:55], v[16:17], v[24:25]
	v_add_f64 v[56:57], v[22:23], v[26:27]
	v_add_f64 v[16:17], v[24:25], -v[16:17]
	v_add_f64 v[22:23], v[26:27], -v[22:23]
	v_add_f64 v[24:25], v[58:59], v[8:9]
	v_add_f64 v[26:27], v[60:61], v[10:11]
	;; [unrolled: 1-line block ×3, first 2 shown]
	v_add_f64 v[44:45], v[69:70], -v[73:74]
	v_add_f64 v[48:49], v[65:66], -v[244:245]
	;; [unrolled: 1-line block ×3, first 2 shown]
	v_add_f64 v[248:249], v[83:84], v[71:72]
	v_add_f64 v[254:255], v[244:245], v[65:66]
	v_add_f64 v[65:66], v[67:68], -v[75:76]
	v_add_f64 v[67:68], v[73:74], v[69:70]
	v_add_f64 v[69:70], v[58:59], -v[8:9]
	v_add_f64 v[71:72], v[60:61], -v[10:11]
	;; [unrolled: 1-line block ×6, first 2 shown]
	v_add_f64 v[73:74], v[16:17], v[14:15]
	v_add_f64 v[75:76], v[22:23], v[20:21]
	v_add_f64 v[83:84], v[16:17], -v[14:15]
	v_add_f64 v[85:86], v[22:23], -v[20:21]
	;; [unrolled: 1-line block ×3, first 2 shown]
	v_add_f64 v[24:25], v[54:55], v[24:25]
	v_add_f64 v[26:27], v[56:57], v[26:27]
	v_add_f64 v[16:17], v[12:13], -v[16:17]
	v_add_f64 v[22:23], v[18:19], -v[22:23]
	;; [unrolled: 1-line block ×3, first 2 shown]
	v_add_f64 v[12:13], v[73:74], v[12:13]
	v_add_f64 v[18:19], v[75:76], v[18:19]
	v_mul_f64 v[8:9], v[8:9], s[4:5]
	v_add_f64 v[54:55], v[240:241], v[24:25]
	v_add_f64 v[56:57], v[242:243], v[26:27]
	v_mul_f64 v[10:11], v[10:11], s[4:5]
	v_mul_f64 v[73:74], v[58:59], s[0:1]
	;; [unrolled: 1-line block ×7, first 2 shown]
	v_fma_f64 v[24:25], v[24:25], s[16:17], v[54:55]
	v_fma_f64 v[26:27], v[26:27], s[16:17], v[56:57]
	;; [unrolled: 1-line block ×4, first 2 shown]
	v_fma_f64 v[73:74], v[69:70], s[18:19], -v[73:74]
	v_fma_f64 v[75:76], v[71:72], s[18:19], -v[75:76]
	;; [unrolled: 1-line block ×4, first 2 shown]
	v_fma_f64 v[69:70], v[16:17], s[24:25], v[83:84]
	v_fma_f64 v[14:15], v[14:15], s[6:7], -v[83:84]
	v_fma_f64 v[20:21], v[20:21], s[6:7], -v[85:86]
	;; [unrolled: 1-line block ×3, first 2 shown]
	v_fma_f64 v[71:72], v[22:23], s[24:25], v[85:86]
	v_fma_f64 v[22:23], v[22:23], s[26:27], -v[242:243]
	v_add_f64 v[85:86], v[60:61], v[26:27]
	v_add_f64 v[73:74], v[73:74], v[24:25]
	;; [unrolled: 1-line block ×4, first 2 shown]
	v_fma_f64 v[87:88], v[12:13], s[20:21], v[69:70]
	v_fma_f64 v[14:15], v[12:13], s[20:21], v[14:15]
	v_fma_f64 v[20:21], v[18:19], s[20:21], v[20:21]
	v_fma_f64 v[12:13], v[12:13], s[20:21], v[16:17]
	v_add_f64 v[83:84], v[58:59], v[24:25]
	v_add_f64 v[24:25], v[8:9], v[24:25]
	v_fma_f64 v[89:90], v[18:19], s[20:21], v[71:72]
	v_fma_f64 v[16:17], v[18:19], s[20:21], v[22:23]
	v_add_f64 v[22:23], v[36:37], v[77:78]
	v_add_f64 v[242:243], v[14:15], v[75:76]
	v_add_f64 v[240:241], v[73:74], -v[20:21]
	v_add_f64 v[10:11], v[26:27], -v[12:13]
	v_add_f64 v[244:245], v[20:21], v[73:74]
	v_add_f64 v[246:247], v[75:76], -v[14:15]
	v_add_f64 v[71:72], v[12:13], v[26:27]
	v_add_f64 v[12:13], v[28:29], v[79:80]
	;; [unrolled: 1-line block ×5, first 2 shown]
	v_add_f64 v[69:70], v[24:25], -v[16:17]
	v_add_f64 v[16:17], v[28:29], -v[79:80]
	;; [unrolled: 1-line block ×4, first 2 shown]
	v_add_f64 v[26:27], v[32:33], v[2:3]
	v_add_f64 v[28:29], v[0:1], v[4:5]
	v_add_f64 v[2:3], v[2:3], -v[32:33]
	v_add_f64 v[0:1], v[4:5], -v[0:1]
	v_add_f64 v[4:5], v[20:21], v[12:13]
	v_add_f64 v[30:31], v[22:23], v[14:15]
	v_add_f64 v[18:19], v[34:35], -v[81:82]
	v_add_f64 v[32:33], v[20:21], -v[12:13]
	;; [unrolled: 1-line block ×6, first 2 shown]
	v_add_f64 v[36:37], v[2:3], v[6:7]
	v_add_f64 v[77:78], v[0:1], v[24:25]
	v_add_f64 v[79:80], v[2:3], -v[6:7]
	v_add_f64 v[4:5], v[26:27], v[4:5]
	v_add_f64 v[26:27], v[28:29], v[30:31]
	v_add_f64 v[14:15], v[14:15], -v[28:29]
	v_add_f64 v[81:82], v[0:1], -v[24:25]
	;; [unrolled: 1-line block ×4, first 2 shown]
	v_add_f64 v[58:59], v[89:90], v[83:84]
	v_add_f64 v[60:61], v[85:86], -v[87:88]
	v_add_f64 v[73:74], v[83:84], -v[89:90]
	v_add_f64 v[75:76], v[87:88], v[85:86]
	v_add_f64 v[83:84], v[16:17], -v[2:3]
	v_add_f64 v[85:86], v[18:19], -v[0:1]
	v_add_f64 v[30:31], v[36:37], v[16:17]
	v_add_f64 v[36:37], v[77:78], v[18:19]
	v_add_f64 v[0:1], v[236:237], v[4:5]
	v_add_f64 v[2:3], v[238:239], v[26:27]
	v_mul_f64 v[12:13], v[12:13], s[4:5]
	v_mul_f64 v[16:17], v[20:21], s[0:1]
	;; [unrolled: 1-line block ×8, first 2 shown]
	v_fma_f64 v[87:88], v[4:5], s[16:17], v[0:1]
	v_fma_f64 v[26:27], v[26:27], s[16:17], v[2:3]
	;; [unrolled: 1-line block ×3, first 2 shown]
	v_fma_f64 v[16:17], v[32:33], s[18:19], -v[16:17]
	v_fma_f64 v[18:19], v[34:35], s[18:19], -v[18:19]
	;; [unrolled: 1-line block ×3, first 2 shown]
	v_fma_f64 v[32:33], v[83:84], s[24:25], v[28:29]
	v_fma_f64 v[28:29], v[6:7], s[6:7], -v[28:29]
	v_fma_f64 v[20:21], v[22:23], s[0:1], v[14:15]
	v_fma_f64 v[22:23], v[34:35], s[22:23], -v[14:15]
	;; [unrolled: 2-line block ×3, first 2 shown]
	v_fma_f64 v[79:80], v[83:84], s[26:27], -v[79:80]
	v_fma_f64 v[81:82], v[85:86], s[26:27], -v[81:82]
	v_add_f64 v[24:25], v[18:19], v[26:27]
	v_fma_f64 v[28:29], v[30:31], s[20:21], v[28:29]
	v_add_f64 v[14:15], v[20:21], v[26:27]
	v_add_f64 v[6:7], v[16:17], v[87:88]
	;; [unrolled: 1-line block ×3, first 2 shown]
	v_fma_f64 v[20:21], v[36:37], s[20:21], v[77:78]
	v_add_f64 v[12:13], v[12:13], v[87:88]
	v_add_f64 v[22:23], v[22:23], v[26:27]
	v_fma_f64 v[18:19], v[30:31], s[20:21], v[32:33]
	v_fma_f64 v[16:17], v[36:37], s[20:21], v[34:35]
	;; [unrolled: 1-line block ×4, first 2 shown]
	v_add_f64 v[79:80], v[24:25], -v[28:29]
	v_add_f64 v[77:78], v[20:21], v[6:7]
	v_lshl_add_u32 v32, v62, 4, v64
	ds_write_b128 v63, v[38:41]
	v_add_f64 v[238:239], v[18:19], v[14:15]
	v_add_f64 v[236:237], v[4:5], -v[16:17]
	v_add_f64 v[35:36], v[30:31], v[22:23]
	v_add_f64 v[33:34], v[12:13], -v[26:27]
	ds_write_b128 v32, v[42:45] offset:4608
	ds_write_b128 v32, v[46:49] offset:9216
	;; [unrolled: 1-line block ×11, first 2 shown]
	v_mov_b32_e32 v249, v80
	v_mov_b32_e32 v248, v79
	;; [unrolled: 1-line block ×4, first 2 shown]
	ds_write_b128 v32, v[69:72] offset:24832
	ds_write_b128 v32, v[73:76] offset:29440
	s_and_saveexec_b64 s[0:1], vcc
	s_cbranch_execz .LBB0_5
; %bb.4:
	v_add_f64 v[18:19], v[14:15], -v[18:19]
	v_add_f64 v[16:17], v[16:17], v[4:5]
	v_add_f64 v[8:9], v[28:29], v[24:25]
	v_add_f64 v[24:25], v[22:23], -v[30:31]
	v_add_f64 v[22:23], v[26:27], v[12:13]
	v_add_f64 v[6:7], v[6:7], -v[20:21]
	ds_write_b128 v63, v[0:3] offset:3584
	ds_write_b128 v32, v[16:19] offset:8192
	;; [unrolled: 1-line block ×7, first 2 shown]
.LBB0_5:
	s_or_b64 exec, exec, s[0:1]
	s_add_u32 s4, s12, 0x7e00
	s_addc_u32 s5, s13, 0
	v_lshlrev_b32_e32 v18, 4, v62
	s_waitcnt vmcnt(0) lgkmcnt(0)
	s_barrier
	global_load_dwordx4 v[8:11], v18, s[4:5]
	ds_read_b128 v[4:7], v63
	v_add_co_u32_e64 v2, s[0:1], s4, v18
	v_mov_b32_e32 v0, s5
	v_addc_co_u32_e64 v3, s[0:1], 0, v0, s[0:1]
	s_movk_i32 s0, 0x3000
	s_waitcnt vmcnt(0) lgkmcnt(0)
	v_mul_f64 v[0:1], v[6:7], v[10:11]
	v_fma_f64 v[12:13], v[4:5], v[8:9], -v[0:1]
	v_mul_f64 v[0:1], v[4:5], v[10:11]
	v_fma_f64 v[14:15], v[6:7], v[8:9], v[0:1]
	v_add_co_u32_e64 v0, s[0:1], s0, v2
	v_addc_co_u32_e64 v1, s[0:1], 0, v3, s[0:1]
	global_load_dwordx4 v[8:11], v[0:1], off offset:3840
	ds_read_b128 v[4:7], v63 offset:16128
	s_movk_i32 s0, 0x4000
	ds_write_b128 v63, v[12:15]
	v_add_co_u32_e64 v16, s[0:1], s0, v2
	v_addc_co_u32_e64 v17, s[0:1], 0, v3, s[0:1]
	s_movk_i32 s0, 0x1000
	s_waitcnt vmcnt(0) lgkmcnt(1)
	v_mul_f64 v[12:13], v[6:7], v[10:11]
	v_fma_f64 v[12:13], v[4:5], v[8:9], -v[12:13]
	v_mul_f64 v[4:5], v[4:5], v[10:11]
	v_fma_f64 v[14:15], v[6:7], v[8:9], v[4:5]
	global_load_dwordx4 v[8:11], v18, s[4:5] offset:1792
	ds_read_b128 v[4:7], v63 offset:1792
	ds_write_b128 v63, v[12:15] offset:16128
	s_waitcnt vmcnt(0) lgkmcnt(1)
	v_mul_f64 v[12:13], v[6:7], v[10:11]
	v_fma_f64 v[12:13], v[4:5], v[8:9], -v[12:13]
	v_mul_f64 v[4:5], v[4:5], v[10:11]
	v_fma_f64 v[14:15], v[6:7], v[8:9], v[4:5]
	global_load_dwordx4 v[8:11], v[16:17], off offset:1536
	ds_read_b128 v[4:7], v63 offset:17920
	ds_write_b128 v63, v[12:15] offset:1792
	s_waitcnt vmcnt(0) lgkmcnt(1)
	v_mul_f64 v[12:13], v[6:7], v[10:11]
	v_fma_f64 v[12:13], v[4:5], v[8:9], -v[12:13]
	v_mul_f64 v[4:5], v[4:5], v[10:11]
	v_fma_f64 v[14:15], v[6:7], v[8:9], v[4:5]
	global_load_dwordx4 v[8:11], v18, s[4:5] offset:3584
	ds_read_b128 v[4:7], v63 offset:3584
	ds_write_b128 v63, v[12:15] offset:17920
	s_waitcnt vmcnt(0) lgkmcnt(1)
	v_mul_f64 v[12:13], v[6:7], v[10:11]
	v_fma_f64 v[12:13], v[4:5], v[8:9], -v[12:13]
	v_mul_f64 v[4:5], v[4:5], v[10:11]
	v_fma_f64 v[14:15], v[6:7], v[8:9], v[4:5]
	global_load_dwordx4 v[8:11], v[16:17], off offset:3328
	ds_read_b128 v[4:7], v63 offset:19712
	v_add_co_u32_e64 v16, s[0:1], s0, v2
	v_addc_co_u32_e64 v17, s[0:1], 0, v3, s[0:1]
	s_movk_i32 s0, 0x5000
	ds_write_b128 v63, v[12:15] offset:3584
	v_add_co_u32_e64 v18, s[0:1], s0, v2
	v_addc_co_u32_e64 v19, s[0:1], 0, v3, s[0:1]
	s_movk_i32 s0, 0x2000
	s_waitcnt vmcnt(0) lgkmcnt(1)
	v_mul_f64 v[12:13], v[6:7], v[10:11]
	v_fma_f64 v[12:13], v[4:5], v[8:9], -v[12:13]
	v_mul_f64 v[4:5], v[4:5], v[10:11]
	v_fma_f64 v[14:15], v[6:7], v[8:9], v[4:5]
	global_load_dwordx4 v[8:11], v[16:17], off offset:1280
	ds_read_b128 v[4:7], v63 offset:5376
	ds_write_b128 v63, v[12:15] offset:19712
	s_waitcnt vmcnt(0) lgkmcnt(1)
	v_mul_f64 v[12:13], v[6:7], v[10:11]
	v_fma_f64 v[12:13], v[4:5], v[8:9], -v[12:13]
	v_mul_f64 v[4:5], v[4:5], v[10:11]
	v_fma_f64 v[14:15], v[6:7], v[8:9], v[4:5]
	global_load_dwordx4 v[8:11], v[18:19], off offset:1024
	ds_read_b128 v[4:7], v63 offset:21504
	ds_write_b128 v63, v[12:15] offset:5376
	s_waitcnt vmcnt(0) lgkmcnt(1)
	v_mul_f64 v[12:13], v[6:7], v[10:11]
	v_fma_f64 v[12:13], v[4:5], v[8:9], -v[12:13]
	v_mul_f64 v[4:5], v[4:5], v[10:11]
	v_fma_f64 v[14:15], v[6:7], v[8:9], v[4:5]
	global_load_dwordx4 v[8:11], v[16:17], off offset:3072
	ds_read_b128 v[4:7], v63 offset:7168
	v_add_co_u32_e64 v16, s[0:1], s0, v2
	v_addc_co_u32_e64 v17, s[0:1], 0, v3, s[0:1]
	s_movk_i32 s0, 0x6000
	ds_write_b128 v63, v[12:15] offset:21504
	s_waitcnt vmcnt(0) lgkmcnt(1)
	v_mul_f64 v[12:13], v[6:7], v[10:11]
	v_fma_f64 v[12:13], v[4:5], v[8:9], -v[12:13]
	v_mul_f64 v[4:5], v[4:5], v[10:11]
	v_fma_f64 v[14:15], v[6:7], v[8:9], v[4:5]
	global_load_dwordx4 v[8:11], v[18:19], off offset:2816
	ds_read_b128 v[4:7], v63 offset:23296
	v_add_co_u32_e64 v18, s[0:1], s0, v2
	v_addc_co_u32_e64 v19, s[0:1], 0, v3, s[0:1]
	s_movk_i32 s0, 0x7000
	ds_write_b128 v63, v[12:15] offset:7168
	s_waitcnt vmcnt(0) lgkmcnt(1)
	v_mul_f64 v[12:13], v[6:7], v[10:11]
	v_fma_f64 v[12:13], v[4:5], v[8:9], -v[12:13]
	v_mul_f64 v[4:5], v[4:5], v[10:11]
	v_fma_f64 v[14:15], v[6:7], v[8:9], v[4:5]
	global_load_dwordx4 v[8:11], v[16:17], off offset:768
	ds_read_b128 v[4:7], v63 offset:8960
	ds_write_b128 v63, v[12:15] offset:23296
	s_waitcnt vmcnt(0) lgkmcnt(1)
	v_mul_f64 v[12:13], v[6:7], v[10:11]
	v_fma_f64 v[12:13], v[4:5], v[8:9], -v[12:13]
	v_mul_f64 v[4:5], v[4:5], v[10:11]
	v_fma_f64 v[14:15], v[6:7], v[8:9], v[4:5]
	global_load_dwordx4 v[8:11], v[18:19], off offset:512
	ds_read_b128 v[4:7], v63 offset:25088
	;; [unrolled: 8-line block ×5, first 2 shown]
	ds_write_b128 v63, v[12:15] offset:26880
	s_waitcnt vmcnt(0) lgkmcnt(1)
	v_mul_f64 v[0:1], v[6:7], v[10:11]
	v_fma_f64 v[12:13], v[4:5], v[8:9], -v[0:1]
	v_mul_f64 v[0:1], v[4:5], v[10:11]
	v_fma_f64 v[14:15], v[6:7], v[8:9], v[0:1]
	buffer_load_dword v0, off, s[28:31], 0 offset:548 ; 4-byte Folded Reload
	ds_read_b128 v[4:7], v63 offset:28672
	ds_write_b128 v63, v[12:15] offset:12544
	s_waitcnt vmcnt(0)
	global_load_dwordx4 v[8:11], v0, s[4:5]
	s_waitcnt vmcnt(0) lgkmcnt(1)
	v_mul_f64 v[0:1], v[6:7], v[10:11]
	v_fma_f64 v[12:13], v[4:5], v[8:9], -v[0:1]
	v_mul_f64 v[0:1], v[4:5], v[10:11]
	v_fma_f64 v[14:15], v[6:7], v[8:9], v[0:1]
	buffer_load_dword v0, off, s[28:31], 0 offset:552 ; 4-byte Folded Reload
	ds_read_b128 v[4:7], v63 offset:14336
	ds_write_b128 v63, v[12:15] offset:28672
	s_waitcnt vmcnt(0)
	global_load_dwordx4 v[8:11], v0, s[4:5]
	s_mov_b32 s5, 0x3febb67a
	s_waitcnt vmcnt(0) lgkmcnt(1)
	v_mul_f64 v[0:1], v[6:7], v[10:11]
	v_fma_f64 v[12:13], v[4:5], v[8:9], -v[0:1]
	v_mul_f64 v[0:1], v[4:5], v[10:11]
	v_fma_f64 v[14:15], v[6:7], v[8:9], v[0:1]
	v_add_co_u32_e64 v0, s[0:1], s0, v2
	v_addc_co_u32_e64 v1, s[0:1], 0, v3, s[0:1]
	global_load_dwordx4 v[0:3], v[0:1], off offset:1792
	ds_read_b128 v[4:7], v63 offset:30464
	s_mov_b32 s0, 0xe8584caa
	ds_write_b128 v63, v[12:15] offset:14336
	s_mov_b32 s1, 0xbfebb67a
	s_mov_b32 s4, s0
	s_waitcnt vmcnt(0) lgkmcnt(1)
	v_mul_f64 v[8:9], v[6:7], v[2:3]
	v_mul_f64 v[2:3], v[4:5], v[2:3]
	v_fma_f64 v[8:9], v[4:5], v[0:1], -v[8:9]
	v_fma_f64 v[10:11], v[6:7], v[0:1], v[2:3]
	ds_write_b128 v63, v[8:11] offset:30464
	s_waitcnt lgkmcnt(0)
	s_barrier
	ds_read_b128 v[0:3], v63
	ds_read_b128 v[4:7], v63 offset:16128
	ds_read_b128 v[8:11], v63 offset:1792
	;; [unrolled: 1-line block ×17, first 2 shown]
	s_waitcnt lgkmcnt(0)
	s_barrier
	buffer_load_dword v61, off, s[28:31], 0 offset:512 ; 4-byte Folded Reload
	v_add_f64 v[4:5], v[0:1], -v[4:5]
	v_add_f64 v[6:7], v[2:3], -v[6:7]
	;; [unrolled: 1-line block ×8, first 2 shown]
	v_fma_f64 v[0:1], v[0:1], 2.0, -v[4:5]
	v_fma_f64 v[2:3], v[2:3], 2.0, -v[6:7]
	;; [unrolled: 1-line block ×8, first 2 shown]
	v_add_f64 v[41:42], v[37:38], -v[41:42]
	v_add_f64 v[43:44], v[39:40], -v[43:44]
	;; [unrolled: 1-line block ×8, first 2 shown]
	v_fma_f64 v[37:38], v[37:38], 2.0, -v[41:42]
	v_fma_f64 v[39:40], v[39:40], 2.0, -v[43:44]
	;; [unrolled: 1-line block ×4, first 2 shown]
	s_waitcnt vmcnt(0)
	ds_write_b128 v61, v[0:3]
	ds_write_b128 v61, v[4:7] offset:16
	buffer_load_dword v0, off, s[28:31], 0 offset:516 ; 4-byte Folded Reload
	v_fma_f64 v[53:54], v[53:54], 2.0, -v[57:58]
	v_fma_f64 v[55:56], v[55:56], 2.0, -v[59:60]
	;; [unrolled: 1-line block ×4, first 2 shown]
	v_add_f64 v[76:77], v[72:73], -v[76:77]
	v_add_f64 v[78:79], v[74:75], -v[78:79]
	s_waitcnt vmcnt(0)
	ds_write_b128 v0, v[8:11]
	ds_write_b128 v0, v[12:15] offset:16
	buffer_load_dword v0, off, s[28:31], 0 offset:520 ; 4-byte Folded Reload
	v_fma_f64 v[72:73], v[72:73], 2.0, -v[76:77]
	v_fma_f64 v[74:75], v[74:75], 2.0, -v[78:79]
	s_waitcnt vmcnt(0)
	ds_write_b128 v0, v[16:19]
	ds_write_b128 v0, v[20:23] offset:16
	buffer_load_dword v0, off, s[28:31], 0 offset:524 ; 4-byte Folded Reload
	s_waitcnt vmcnt(0)
	ds_write_b128 v0, v[24:27]
	ds_write_b128 v0, v[28:31] offset:16
	buffer_load_dword v0, off, s[28:31], 0 offset:528 ; 4-byte Folded Reload
	s_waitcnt vmcnt(0)
	ds_write_b128 v0, v[37:40]
	ds_write_b128 v0, v[41:44] offset:16
	buffer_load_dword v0, off, s[28:31], 0 offset:532 ; 4-byte Folded Reload
	s_waitcnt vmcnt(0)
	ds_write_b128 v0, v[45:48]
	ds_write_b128 v0, v[49:52] offset:16
	buffer_load_dword v0, off, s[28:31], 0 offset:536 ; 4-byte Folded Reload
	s_waitcnt vmcnt(0)
	ds_write_b128 v0, v[53:56]
	ds_write_b128 v0, v[57:60] offset:16
	buffer_load_dword v0, off, s[28:31], 0 offset:540 ; 4-byte Folded Reload
	s_waitcnt vmcnt(0)
	ds_write_b128 v0, v[64:67]
	ds_write_b128 v0, v[68:71] offset:16
	buffer_load_dword v0, off, s[28:31], 0 offset:544 ; 4-byte Folded Reload
	s_waitcnt vmcnt(0)
	ds_write_b128 v0, v[72:75]
	ds_write_b128 v0, v[76:79] offset:16
	s_waitcnt lgkmcnt(0)
	s_barrier
	ds_read_b128 v[0:3], v63
	ds_read_b128 v[4:7], v63 offset:16128
	ds_read_b128 v[8:11], v63 offset:1792
	;; [unrolled: 1-line block ×17, first 2 shown]
	s_waitcnt lgkmcnt(14)
	v_mul_f64 v[80:81], v[234:235], v[6:7]
	s_waitcnt lgkmcnt(0)
	s_barrier
	buffer_load_dword v61, off, s[28:31], 0 offset:476 ; 4-byte Folded Reload
	v_fma_f64 v[80:81], v[232:233], v[4:5], v[80:81]
	v_mul_f64 v[4:5], v[234:235], v[4:5]
	v_fma_f64 v[6:7], v[232:233], v[6:7], -v[4:5]
	v_mul_f64 v[4:5], v[234:235], v[14:15]
	v_add_f64 v[6:7], v[2:3], -v[6:7]
	v_fma_f64 v[82:83], v[232:233], v[12:13], v[4:5]
	v_mul_f64 v[4:5], v[234:235], v[12:13]
	v_fma_f64 v[2:3], v[2:3], 2.0, -v[6:7]
	v_add_f64 v[12:13], v[8:9], -v[82:83]
	v_fma_f64 v[14:15], v[232:233], v[14:15], -v[4:5]
	v_mul_f64 v[4:5], v[234:235], v[22:23]
	v_fma_f64 v[8:9], v[8:9], 2.0, -v[12:13]
	v_add_f64 v[14:15], v[10:11], -v[14:15]
	v_fma_f64 v[84:85], v[232:233], v[20:21], v[4:5]
	v_mul_f64 v[4:5], v[234:235], v[20:21]
	v_fma_f64 v[10:11], v[10:11], 2.0, -v[14:15]
	v_add_f64 v[20:21], v[16:17], -v[84:85]
	v_fma_f64 v[22:23], v[232:233], v[22:23], -v[4:5]
	v_mul_f64 v[4:5], v[234:235], v[30:31]
	v_fma_f64 v[16:17], v[16:17], 2.0, -v[20:21]
	;; [unrolled: 8-line block ×7, first 2 shown]
	v_add_f64 v[70:71], v[66:67], -v[70:71]
	v_fma_f64 v[244:245], v[232:233], v[76:77], v[4:5]
	v_mul_f64 v[4:5], v[234:235], v[76:77]
	v_fma_f64 v[66:67], v[66:67], 2.0, -v[70:71]
	v_add_f64 v[76:77], v[72:73], -v[244:245]
	v_fma_f64 v[78:79], v[232:233], v[78:79], -v[4:5]
	v_add_f64 v[4:5], v[0:1], -v[80:81]
	v_fma_f64 v[72:73], v[72:73], 2.0, -v[76:77]
	v_add_f64 v[78:79], v[74:75], -v[78:79]
	v_fma_f64 v[0:1], v[0:1], 2.0, -v[4:5]
	s_waitcnt vmcnt(0)
	ds_write_b128 v61, v[0:3]
	ds_write_b128 v61, v[4:7] offset:32
	buffer_load_dword v0, off, s[28:31], 0 offset:480 ; 4-byte Folded Reload
	v_fma_f64 v[74:75], v[74:75], 2.0, -v[78:79]
	s_waitcnt vmcnt(0)
	ds_write_b128 v0, v[8:11]
	ds_write_b128 v0, v[12:15] offset:32
	buffer_load_dword v0, off, s[28:31], 0 offset:484 ; 4-byte Folded Reload
	s_waitcnt vmcnt(0)
	ds_write_b128 v0, v[16:19]
	ds_write_b128 v0, v[20:23] offset:32
	buffer_load_dword v0, off, s[28:31], 0 offset:488 ; 4-byte Folded Reload
	;; [unrolled: 4-line block ×7, first 2 shown]
	s_waitcnt vmcnt(0)
	ds_write_b128 v0, v[72:75]
	ds_write_b128 v0, v[76:79] offset:32
	s_waitcnt lgkmcnt(0)
	s_barrier
	ds_read_b128 v[0:3], v63
	ds_read_b128 v[4:7], v63 offset:16128
	ds_read_b128 v[8:11], v63 offset:1792
	;; [unrolled: 1-line block ×17, first 2 shown]
	s_waitcnt lgkmcnt(14)
	v_mul_f64 v[80:81], v[230:231], v[6:7]
	s_waitcnt lgkmcnt(0)
	s_barrier
	buffer_load_dword v61, off, s[28:31], 0 offset:440 ; 4-byte Folded Reload
	v_fma_f64 v[80:81], v[228:229], v[4:5], v[80:81]
	v_mul_f64 v[4:5], v[230:231], v[4:5]
	v_fma_f64 v[6:7], v[228:229], v[6:7], -v[4:5]
	v_mul_f64 v[4:5], v[230:231], v[14:15]
	v_add_f64 v[6:7], v[2:3], -v[6:7]
	v_fma_f64 v[82:83], v[228:229], v[12:13], v[4:5]
	v_mul_f64 v[4:5], v[230:231], v[12:13]
	v_fma_f64 v[2:3], v[2:3], 2.0, -v[6:7]
	v_add_f64 v[12:13], v[8:9], -v[82:83]
	v_fma_f64 v[14:15], v[228:229], v[14:15], -v[4:5]
	v_mul_f64 v[4:5], v[230:231], v[22:23]
	v_fma_f64 v[8:9], v[8:9], 2.0, -v[12:13]
	v_add_f64 v[14:15], v[10:11], -v[14:15]
	v_fma_f64 v[84:85], v[228:229], v[20:21], v[4:5]
	v_mul_f64 v[4:5], v[230:231], v[20:21]
	v_fma_f64 v[10:11], v[10:11], 2.0, -v[14:15]
	v_add_f64 v[20:21], v[16:17], -v[84:85]
	v_fma_f64 v[22:23], v[228:229], v[22:23], -v[4:5]
	v_mul_f64 v[4:5], v[230:231], v[30:31]
	v_fma_f64 v[16:17], v[16:17], 2.0, -v[20:21]
	;; [unrolled: 8-line block ×7, first 2 shown]
	v_add_f64 v[70:71], v[66:67], -v[70:71]
	v_fma_f64 v[240:241], v[228:229], v[76:77], v[4:5]
	v_mul_f64 v[4:5], v[230:231], v[76:77]
	v_fma_f64 v[66:67], v[66:67], 2.0, -v[70:71]
	v_add_f64 v[76:77], v[72:73], -v[240:241]
	v_fma_f64 v[78:79], v[228:229], v[78:79], -v[4:5]
	v_add_f64 v[4:5], v[0:1], -v[80:81]
	v_fma_f64 v[72:73], v[72:73], 2.0, -v[76:77]
	v_add_f64 v[78:79], v[74:75], -v[78:79]
	v_fma_f64 v[0:1], v[0:1], 2.0, -v[4:5]
	s_waitcnt vmcnt(0)
	ds_write_b128 v61, v[0:3]
	ds_write_b128 v61, v[4:7] offset:64
	buffer_load_dword v0, off, s[28:31], 0 offset:444 ; 4-byte Folded Reload
	s_waitcnt vmcnt(0)
	ds_write_b128 v0, v[8:11]
	ds_write_b128 v0, v[12:15] offset:64
	buffer_load_dword v0, off, s[28:31], 0 offset:448 ; 4-byte Folded Reload
	;; [unrolled: 4-line block ×8, first 2 shown]
	v_fma_f64 v[74:75], v[74:75], 2.0, -v[78:79]
	s_waitcnt vmcnt(0)
	ds_write_b128 v0, v[72:75]
	ds_write_b128 v0, v[76:79] offset:64
	s_waitcnt lgkmcnt(0)
	s_barrier
	ds_read_b128 v[0:3], v63
	ds_read_b128 v[4:7], v63 offset:16128
	ds_read_b128 v[8:11], v63 offset:1792
	;; [unrolled: 1-line block ×17, first 2 shown]
	s_waitcnt lgkmcnt(14)
	v_mul_f64 v[80:81], v[226:227], v[6:7]
	s_waitcnt lgkmcnt(0)
	s_barrier
	buffer_load_dword v61, off, s[28:31], 0 offset:404 ; 4-byte Folded Reload
	v_fma_f64 v[80:81], v[224:225], v[4:5], v[80:81]
	v_mul_f64 v[4:5], v[226:227], v[4:5]
	v_fma_f64 v[6:7], v[224:225], v[6:7], -v[4:5]
	v_mul_f64 v[4:5], v[226:227], v[14:15]
	v_add_f64 v[6:7], v[2:3], -v[6:7]
	v_fma_f64 v[82:83], v[224:225], v[12:13], v[4:5]
	v_mul_f64 v[4:5], v[226:227], v[12:13]
	v_fma_f64 v[2:3], v[2:3], 2.0, -v[6:7]
	v_add_f64 v[12:13], v[8:9], -v[82:83]
	v_fma_f64 v[14:15], v[224:225], v[14:15], -v[4:5]
	v_mul_f64 v[4:5], v[226:227], v[22:23]
	v_fma_f64 v[8:9], v[8:9], 2.0, -v[12:13]
	v_add_f64 v[14:15], v[10:11], -v[14:15]
	v_fma_f64 v[84:85], v[224:225], v[20:21], v[4:5]
	v_mul_f64 v[4:5], v[226:227], v[20:21]
	v_fma_f64 v[10:11], v[10:11], 2.0, -v[14:15]
	v_add_f64 v[20:21], v[16:17], -v[84:85]
	v_fma_f64 v[22:23], v[224:225], v[22:23], -v[4:5]
	v_mul_f64 v[4:5], v[226:227], v[30:31]
	v_fma_f64 v[16:17], v[16:17], 2.0, -v[20:21]
	;; [unrolled: 8-line block ×7, first 2 shown]
	v_add_f64 v[70:71], v[66:67], -v[70:71]
	v_fma_f64 v[232:233], v[224:225], v[76:77], v[4:5]
	v_mul_f64 v[4:5], v[226:227], v[76:77]
	v_fma_f64 v[66:67], v[66:67], 2.0, -v[70:71]
	v_add_f64 v[76:77], v[72:73], -v[232:233]
	v_fma_f64 v[78:79], v[224:225], v[78:79], -v[4:5]
	v_add_f64 v[4:5], v[0:1], -v[80:81]
	v_fma_f64 v[72:73], v[72:73], 2.0, -v[76:77]
	v_add_f64 v[78:79], v[74:75], -v[78:79]
	v_fma_f64 v[0:1], v[0:1], 2.0, -v[4:5]
	s_waitcnt vmcnt(0)
	ds_write_b128 v61, v[0:3]
	ds_write_b128 v61, v[4:7] offset:128
	buffer_load_dword v0, off, s[28:31], 0 offset:408 ; 4-byte Folded Reload
	s_waitcnt vmcnt(0)
	ds_write_b128 v0, v[8:11]
	ds_write_b128 v0, v[12:15] offset:128
	buffer_load_dword v0, off, s[28:31], 0 offset:412 ; 4-byte Folded Reload
	;; [unrolled: 4-line block ×8, first 2 shown]
	v_fma_f64 v[74:75], v[74:75], 2.0, -v[78:79]
	s_waitcnt vmcnt(0)
	ds_write_b128 v0, v[72:75]
	ds_write_b128 v0, v[76:79] offset:128
	s_waitcnt lgkmcnt(0)
	s_barrier
	ds_read_b128 v[0:3], v63
	ds_read_b128 v[4:7], v63 offset:16128
	ds_read_b128 v[8:11], v63 offset:1792
	;; [unrolled: 1-line block ×17, first 2 shown]
	s_waitcnt lgkmcnt(14)
	v_mul_f64 v[80:81], v[202:203], v[6:7]
	s_waitcnt lgkmcnt(0)
	s_barrier
	buffer_load_dword v61, off, s[28:31], 0 offset:360 ; 4-byte Folded Reload
	v_fma_f64 v[80:81], v[200:201], v[4:5], v[80:81]
	v_mul_f64 v[4:5], v[202:203], v[4:5]
	v_fma_f64 v[6:7], v[200:201], v[6:7], -v[4:5]
	v_mul_f64 v[4:5], v[202:203], v[14:15]
	v_add_f64 v[6:7], v[2:3], -v[6:7]
	v_fma_f64 v[82:83], v[200:201], v[12:13], v[4:5]
	v_mul_f64 v[4:5], v[202:203], v[12:13]
	v_fma_f64 v[2:3], v[2:3], 2.0, -v[6:7]
	v_add_f64 v[12:13], v[8:9], -v[82:83]
	v_fma_f64 v[14:15], v[200:201], v[14:15], -v[4:5]
	v_mul_f64 v[4:5], v[202:203], v[22:23]
	v_fma_f64 v[8:9], v[8:9], 2.0, -v[12:13]
	v_add_f64 v[14:15], v[10:11], -v[14:15]
	v_fma_f64 v[84:85], v[200:201], v[20:21], v[4:5]
	v_mul_f64 v[4:5], v[202:203], v[20:21]
	v_fma_f64 v[10:11], v[10:11], 2.0, -v[14:15]
	v_add_f64 v[20:21], v[16:17], -v[84:85]
	v_fma_f64 v[22:23], v[200:201], v[22:23], -v[4:5]
	v_mul_f64 v[4:5], v[202:203], v[30:31]
	v_fma_f64 v[16:17], v[16:17], 2.0, -v[20:21]
	;; [unrolled: 8-line block ×7, first 2 shown]
	v_add_f64 v[70:71], v[66:67], -v[70:71]
	v_fma_f64 v[228:229], v[200:201], v[76:77], v[4:5]
	v_mul_f64 v[4:5], v[202:203], v[76:77]
	v_fma_f64 v[66:67], v[66:67], 2.0, -v[70:71]
	v_add_f64 v[76:77], v[72:73], -v[228:229]
	v_fma_f64 v[78:79], v[200:201], v[78:79], -v[4:5]
	v_add_f64 v[4:5], v[0:1], -v[80:81]
	v_fma_f64 v[72:73], v[72:73], 2.0, -v[76:77]
	v_add_f64 v[78:79], v[74:75], -v[78:79]
	v_fma_f64 v[0:1], v[0:1], 2.0, -v[4:5]
	s_waitcnt vmcnt(0)
	ds_write_b128 v61, v[0:3]
	ds_write_b128 v61, v[4:7] offset:256
	buffer_load_dword v0, off, s[28:31], 0 offset:364 ; 4-byte Folded Reload
	s_waitcnt vmcnt(0)
	ds_write_b128 v0, v[8:11]
	ds_write_b128 v0, v[12:15] offset:256
	buffer_load_dword v0, off, s[28:31], 0 offset:368 ; 4-byte Folded Reload
	;; [unrolled: 4-line block ×8, first 2 shown]
	v_fma_f64 v[74:75], v[74:75], 2.0, -v[78:79]
	s_waitcnt vmcnt(0)
	ds_write_b128 v0, v[72:75]
	ds_write_b128 v0, v[76:79] offset:256
	s_waitcnt lgkmcnt(0)
	s_barrier
	ds_read_b128 v[8:11], v63
	ds_read_b128 v[12:15], v63 offset:10752
	ds_read_b128 v[16:19], v63 offset:21504
	;; [unrolled: 1-line block ×17, first 2 shown]
	s_waitcnt lgkmcnt(14)
	v_mul_f64 v[76:77], v[162:163], v[14:15]
	v_fma_f64 v[76:77], v[160:161], v[12:13], v[76:77]
	v_mul_f64 v[12:13], v[162:163], v[12:13]
	v_fma_f64 v[78:79], v[160:161], v[14:15], -v[12:13]
	buffer_load_dword v14, off, s[28:31], 0 offset:396 ; 4-byte Folded Reload
	buffer_load_dword v15, off, s[28:31], 0 offset:400 ; 4-byte Folded Reload
	v_mul_f64 v[12:13], v[146:147], v[18:19]
	v_fma_f64 v[80:81], v[144:145], v[16:17], v[12:13]
	v_mul_f64 v[12:13], v[146:147], v[16:17]
	v_fma_f64 v[18:19], v[144:145], v[18:19], -v[12:13]
	s_waitcnt lgkmcnt(13)
	v_mul_f64 v[12:13], v[166:167], v[26:27]
	v_add_f64 v[16:17], v[78:79], -v[18:19]
	s_waitcnt vmcnt(0)
	v_fma_f64 v[82:83], v[14:15], v[24:25], v[12:13]
	v_mul_f64 v[12:13], v[166:167], v[24:25]
	v_add_f64 v[24:25], v[76:77], -v[80:81]
	v_fma_f64 v[84:85], v[14:15], v[26:27], -v[12:13]
	s_waitcnt lgkmcnt(12)
	v_mul_f64 v[12:13], v[178:179], v[30:31]
	buffer_load_dword v14, off, s[28:31], 0 offset:352 ; 4-byte Folded Reload
	buffer_load_dword v15, off, s[28:31], 0 offset:356 ; 4-byte Folded Reload
	s_waitcnt vmcnt(0) lgkmcnt(0)
	s_barrier
	buffer_load_dword v61, off, s[28:31], 0 offset:328 ; 4-byte Folded Reload
	v_fma_f64 v[86:87], v[182:183], v[28:29], v[12:13]
	v_mul_f64 v[12:13], v[178:179], v[28:29]
	v_add_f64 v[26:27], v[82:83], v[86:87]
	v_fma_f64 v[30:31], v[182:183], v[30:31], -v[12:13]
	v_mul_f64 v[12:13], v[162:163], v[43:44]
	v_fma_f64 v[26:27], v[26:27], -0.5, v[20:21]
	v_add_f64 v[28:29], v[84:85], -v[30:31]
	v_fma_f64 v[88:89], v[160:161], v[41:42], v[12:13]
	v_mul_f64 v[12:13], v[162:163], v[41:42]
	v_add_f64 v[41:42], v[82:83], -v[86:87]
	v_fma_f64 v[90:91], v[160:161], v[43:44], -v[12:13]
	v_mul_f64 v[12:13], v[146:147], v[47:48]
	v_fma_f64 v[166:167], v[144:145], v[45:46], v[12:13]
	v_mul_f64 v[12:13], v[146:147], v[45:46]
	v_add_f64 v[43:44], v[88:89], v[166:167]
	v_fma_f64 v[47:48], v[144:145], v[47:48], -v[12:13]
	v_mul_f64 v[12:13], v[222:223], v[51:52]
	v_fma_f64 v[43:44], v[43:44], -0.5, v[37:38]
	v_add_f64 v[45:46], v[90:91], -v[47:48]
	v_fma_f64 v[178:179], v[220:221], v[49:50], v[12:13]
	v_mul_f64 v[12:13], v[222:223], v[49:50]
	v_add_f64 v[49:50], v[88:89], -v[166:167]
	v_fma_f64 v[182:183], v[220:221], v[51:52], -v[12:13]
	v_mul_f64 v[12:13], v[218:219], v[55:56]
	;; [unrolled: 12-line block ×3, first 2 shown]
	v_fma_f64 v[162:163], v[144:145], v[64:65], v[12:13]
	v_mul_f64 v[12:13], v[146:147], v[64:65]
	v_add_f64 v[59:60], v[216:217], v[162:163]
	v_fma_f64 v[66:67], v[144:145], v[66:67], -v[12:13]
	v_mul_f64 v[12:13], v[180:181], v[70:71]
	v_fma_f64 v[59:60], v[59:60], -0.5, v[200:201]
	v_fma_f64 v[144:145], v[164:165], v[68:69], v[12:13]
	v_mul_f64 v[12:13], v[180:181], v[68:69]
	v_add_f64 v[68:69], v[160:161], -v[66:67]
	v_fma_f64 v[146:147], v[164:165], v[70:71], -v[12:13]
	v_mul_f64 v[12:13], v[14:15], v[74:75]
	v_fma_f64 v[64:65], v[68:69], s[0:1], v[59:60]
	v_fma_f64 v[68:69], v[68:69], s[4:5], v[59:60]
	v_add_f64 v[59:60], v[202:203], v[160:161]
	v_fma_f64 v[164:165], v[176:177], v[72:73], v[12:13]
	v_mul_f64 v[12:13], v[14:15], v[72:73]
	v_add_f64 v[14:15], v[76:77], v[80:81]
	v_add_f64 v[59:60], v[59:60], v[66:67]
	;; [unrolled: 1-line block ×3, first 2 shown]
	v_add_f64 v[72:73], v[216:217], -v[162:163]
	v_fma_f64 v[176:177], v[176:177], v[74:75], -v[12:13]
	v_fma_f64 v[14:15], v[14:15], -0.5, v[8:9]
	v_add_f64 v[12:13], v[8:9], v[76:77]
	v_fma_f64 v[70:71], v[66:67], -0.5, v[202:203]
	v_add_f64 v[74:75], v[144:145], v[164:165]
	v_add_f64 v[76:77], v[146:147], -v[176:177]
	v_fma_f64 v[8:9], v[16:17], s[0:1], v[14:15]
	v_fma_f64 v[16:17], v[16:17], s[4:5], v[14:15]
	v_add_f64 v[14:15], v[10:11], v[78:79]
	v_add_f64 v[12:13], v[12:13], v[80:81]
	v_fma_f64 v[66:67], v[72:73], s[4:5], v[70:71]
	v_fma_f64 v[70:71], v[72:73], s[0:1], v[70:71]
	v_fma_f64 v[74:75], v[74:75], -0.5, v[0:1]
	v_add_f64 v[72:73], v[0:1], v[144:145]
	v_add_f64 v[80:81], v[144:145], -v[164:165]
	v_add_f64 v[14:15], v[14:15], v[18:19]
	v_add_f64 v[18:19], v[78:79], v[18:19]
	;; [unrolled: 1-line block ×3, first 2 shown]
	v_fma_f64 v[0:1], v[76:77], s[0:1], v[74:75]
	v_fma_f64 v[76:77], v[76:77], s[4:5], v[74:75]
	v_add_f64 v[74:75], v[2:3], v[146:147]
	v_add_f64 v[72:73], v[72:73], v[164:165]
	v_fma_f64 v[18:19], v[18:19], -0.5, v[10:11]
	v_fma_f64 v[78:79], v[78:79], -0.5, v[2:3]
	v_add_f64 v[74:75], v[74:75], v[176:177]
	v_fma_f64 v[10:11], v[24:25], s[4:5], v[18:19]
	v_fma_f64 v[18:19], v[24:25], s[0:1], v[18:19]
	s_waitcnt vmcnt(0)
	ds_write_b128 v61, v[12:15]
	ds_write_b128 v61, v[8:11] offset:512
	ds_write_b128 v61, v[16:19] offset:1024
	buffer_load_dword v8, off, s[28:31], 0 offset:332 ; 4-byte Folded Reload
	v_add_f64 v[24:25], v[20:21], v[82:83]
	v_fma_f64 v[20:21], v[28:29], s[0:1], v[26:27]
	v_fma_f64 v[28:29], v[28:29], s[4:5], v[26:27]
	v_add_f64 v[26:27], v[22:23], v[84:85]
	v_fma_f64 v[2:3], v[80:81], s[4:5], v[78:79]
	v_fma_f64 v[78:79], v[80:81], s[0:1], v[78:79]
	v_add_f64 v[24:25], v[24:25], v[86:87]
	v_add_f64 v[26:27], v[26:27], v[30:31]
	;; [unrolled: 1-line block ×3, first 2 shown]
	v_fma_f64 v[30:31], v[30:31], -0.5, v[22:23]
	v_fma_f64 v[22:23], v[41:42], s[4:5], v[30:31]
	v_fma_f64 v[30:31], v[41:42], s[0:1], v[30:31]
	s_waitcnt vmcnt(0)
	ds_write_b128 v8, v[24:27]
	ds_write_b128 v8, v[20:23] offset:512
	ds_write_b128 v8, v[28:31] offset:1024
	buffer_load_dword v8, off, s[28:31], 0 offset:336 ; 4-byte Folded Reload
	v_add_f64 v[41:42], v[37:38], v[88:89]
	v_fma_f64 v[37:38], v[45:46], s[0:1], v[43:44]
	v_fma_f64 v[45:46], v[45:46], s[4:5], v[43:44]
	v_add_f64 v[43:44], v[39:40], v[90:91]
	v_add_f64 v[41:42], v[41:42], v[166:167]
	;; [unrolled: 1-line block ×4, first 2 shown]
	v_fma_f64 v[47:48], v[47:48], -0.5, v[39:40]
	v_fma_f64 v[39:40], v[49:50], s[4:5], v[47:48]
	v_fma_f64 v[47:48], v[49:50], s[0:1], v[47:48]
	s_waitcnt vmcnt(0)
	ds_write_b128 v8, v[41:44]
	ds_write_b128 v8, v[37:40] offset:512
	ds_write_b128 v8, v[45:48] offset:1024
	buffer_load_dword v8, off, s[28:31], 0 offset:340 ; 4-byte Folded Reload
	v_add_f64 v[49:50], v[4:5], v[178:179]
	v_fma_f64 v[4:5], v[53:54], s[0:1], v[51:52]
	v_fma_f64 v[53:54], v[53:54], s[4:5], v[51:52]
	v_add_f64 v[51:52], v[6:7], v[182:183]
	v_add_f64 v[49:50], v[49:50], v[220:221]
	;; [unrolled: 1-line block ×4, first 2 shown]
	v_fma_f64 v[55:56], v[55:56], -0.5, v[6:7]
	v_fma_f64 v[6:7], v[57:58], s[4:5], v[55:56]
	v_fma_f64 v[55:56], v[57:58], s[0:1], v[55:56]
	s_waitcnt vmcnt(0)
	ds_write_b128 v8, v[49:52]
	ds_write_b128 v8, v[4:7] offset:512
	ds_write_b128 v8, v[53:56] offset:1024
	buffer_load_dword v4, off, s[28:31], 0 offset:344 ; 4-byte Folded Reload
	v_add_f64 v[57:58], v[200:201], v[216:217]
	v_add_f64 v[57:58], v[57:58], v[162:163]
	s_waitcnt vmcnt(0)
	ds_write_b128 v4, v[57:60]
	ds_write_b128 v4, v[64:67] offset:512
	ds_write_b128 v4, v[68:71] offset:1024
	buffer_load_dword v4, off, s[28:31], 0 offset:348 ; 4-byte Folded Reload
	s_waitcnt vmcnt(0)
	ds_write_b128 v4, v[72:75]
	ds_write_b128 v4, v[0:3] offset:512
	ds_write_b128 v4, v[76:79] offset:1024
	s_waitcnt lgkmcnt(0)
	s_barrier
	ds_read_b128 v[4:7], v63
	ds_read_b128 v[8:11], v63 offset:10752
	ds_read_b128 v[12:15], v63 offset:21504
	;; [unrolled: 1-line block ×17, first 2 shown]
	s_waitcnt lgkmcnt(14)
	v_mul_f64 v[76:77], v[134:135], v[10:11]
	s_waitcnt lgkmcnt(0)
	s_barrier
	v_fma_f64 v[76:77], v[132:133], v[8:9], v[76:77]
	v_mul_f64 v[8:9], v[134:135], v[8:9]
	v_fma_f64 v[78:79], v[132:133], v[10:11], -v[8:9]
	v_mul_f64 v[8:9], v[114:115], v[14:15]
	v_fma_f64 v[80:81], v[112:113], v[12:13], v[8:9]
	v_mul_f64 v[8:9], v[114:115], v[12:13]
	v_add_f64 v[10:11], v[76:77], v[80:81]
	v_fma_f64 v[14:15], v[112:113], v[14:15], -v[8:9]
	v_mul_f64 v[8:9], v[138:139], v[22:23]
	v_fma_f64 v[10:11], v[10:11], -0.5, v[4:5]
	v_add_f64 v[12:13], v[78:79], -v[14:15]
	v_fma_f64 v[82:83], v[136:137], v[20:21], v[8:9]
	v_mul_f64 v[8:9], v[138:139], v[20:21]
	v_add_f64 v[20:21], v[76:77], -v[80:81]
	v_fma_f64 v[84:85], v[136:137], v[22:23], -v[8:9]
	v_mul_f64 v[8:9], v[118:119], v[26:27]
	v_fma_f64 v[86:87], v[116:117], v[24:25], v[8:9]
	v_mul_f64 v[8:9], v[118:119], v[24:25]
	v_add_f64 v[22:23], v[82:83], v[86:87]
	v_fma_f64 v[26:27], v[116:117], v[26:27], -v[8:9]
	v_mul_f64 v[8:9], v[150:151], v[39:40]
	v_fma_f64 v[22:23], v[22:23], -0.5, v[16:17]
	v_add_f64 v[24:25], v[84:85], -v[26:27]
	v_fma_f64 v[88:89], v[148:149], v[37:38], v[8:9]
	v_mul_f64 v[8:9], v[150:151], v[37:38]
	v_add_f64 v[37:38], v[82:83], -v[86:87]
	;; [unrolled: 12-line block ×4, first 2 shown]
	v_fma_f64 v[134:135], v[192:193], v[59:60], -v[8:9]
	v_mul_f64 v[8:9], v[198:199], v[66:67]
	v_fma_f64 v[136:137], v[196:197], v[64:65], v[8:9]
	v_mul_f64 v[8:9], v[198:199], v[64:65]
	v_add_f64 v[59:60], v[132:133], v[136:137]
	v_fma_f64 v[66:67], v[196:197], v[66:67], -v[8:9]
	v_mul_f64 v[8:9], v[206:207], v[70:71]
	v_fma_f64 v[59:60], v[59:60], -0.5, v[144:145]
	v_fma_f64 v[138:139], v[204:205], v[68:69], v[8:9]
	v_mul_f64 v[8:9], v[206:207], v[68:69]
	v_fma_f64 v[68:69], v[204:205], v[70:71], -v[8:9]
	v_mul_f64 v[8:9], v[210:211], v[74:75]
	v_fma_f64 v[70:71], v[208:209], v[72:73], v[8:9]
	v_mul_f64 v[8:9], v[210:211], v[72:73]
	v_fma_f64 v[72:73], v[208:209], v[74:75], -v[8:9]
	v_add_f64 v[8:9], v[4:5], v[76:77]
	v_fma_f64 v[4:5], v[12:13], s[0:1], v[10:11]
	v_fma_f64 v[12:13], v[12:13], s[4:5], v[10:11]
	v_add_f64 v[10:11], v[6:7], v[78:79]
	v_add_f64 v[74:75], v[134:135], -v[66:67]
	v_add_f64 v[76:77], v[132:133], -v[136:137]
	v_add_f64 v[8:9], v[8:9], v[80:81]
	v_add_f64 v[10:11], v[10:11], v[14:15]
	;; [unrolled: 1-line block ×3, first 2 shown]
	v_fma_f64 v[64:65], v[74:75], s[0:1], v[59:60]
	v_fma_f64 v[14:15], v[14:15], -0.5, v[6:7]
	v_fma_f64 v[6:7], v[20:21], s[4:5], v[14:15]
	v_fma_f64 v[14:15], v[20:21], s[0:1], v[14:15]
	v_add_f64 v[20:21], v[16:17], v[82:83]
	v_fma_f64 v[16:17], v[24:25], s[0:1], v[22:23]
	v_fma_f64 v[24:25], v[24:25], s[4:5], v[22:23]
	v_add_f64 v[22:23], v[18:19], v[84:85]
	v_add_f64 v[20:21], v[20:21], v[86:87]
	;; [unrolled: 1-line block ×4, first 2 shown]
	v_fma_f64 v[26:27], v[26:27], -0.5, v[18:19]
	v_fma_f64 v[18:19], v[37:38], s[4:5], v[26:27]
	v_fma_f64 v[26:27], v[37:38], s[0:1], v[26:27]
	v_add_f64 v[37:38], v[28:29], v[88:89]
	v_fma_f64 v[28:29], v[41:42], s[0:1], v[39:40]
	v_fma_f64 v[41:42], v[41:42], s[4:5], v[39:40]
	v_add_f64 v[39:40], v[30:31], v[90:91]
	v_add_f64 v[37:38], v[37:38], v[112:113]
	v_fma_f64 v[112:113], v[74:75], s[4:5], v[59:60]
	v_add_f64 v[59:60], v[146:147], v[134:135]
	v_add_f64 v[39:40], v[39:40], v[43:44]
	;; [unrolled: 1-line block ×5, first 2 shown]
	v_fma_f64 v[43:44], v[43:44], -0.5, v[30:31]
	v_fma_f64 v[74:75], v[66:67], -0.5, v[146:147]
	v_fma_f64 v[30:31], v[49:50], s[4:5], v[43:44]
	v_fma_f64 v[43:44], v[49:50], s[0:1], v[43:44]
	v_add_f64 v[49:50], v[45:46], v[114:115]
	v_fma_f64 v[45:46], v[53:54], s[0:1], v[51:52]
	v_fma_f64 v[53:54], v[53:54], s[4:5], v[51:52]
	v_add_f64 v[51:52], v[47:48], v[116:117]
	;; [unrolled: 3-line block ×3, first 2 shown]
	v_add_f64 v[49:50], v[49:50], v[118:119]
	v_add_f64 v[51:52], v[51:52], v[55:56]
	;; [unrolled: 1-line block ×5, first 2 shown]
	v_fma_f64 v[55:56], v[55:56], -0.5, v[47:48]
	v_fma_f64 v[0:1], v[74:75], -0.5, v[0:1]
	v_add_f64 v[74:75], v[68:69], -v[72:73]
	v_fma_f64 v[47:48], v[57:58], s[4:5], v[55:56]
	v_fma_f64 v[55:56], v[57:58], s[0:1], v[55:56]
	v_add_f64 v[57:58], v[144:145], v[132:133]
	v_fma_f64 v[132:133], v[74:75], s[0:1], v[0:1]
	v_add_f64 v[57:58], v[57:58], v[136:137]
	;; [unrolled: 2-line block ×3, first 2 shown]
	v_add_f64 v[118:119], v[0:1], v[72:73]
	v_add_f64 v[0:1], v[68:69], v[72:73]
	v_fma_f64 v[0:1], v[0:1], -0.5, v[2:3]
	v_add_f64 v[2:3], v[138:139], -v[70:71]
	v_fma_f64 v[134:135], v[2:3], s[4:5], v[0:1]
	v_fma_f64 v[138:139], v[2:3], s[0:1], v[0:1]
	buffer_load_dword v0, off, s[28:31], 0 offset:304 ; 4-byte Folded Reload
	s_waitcnt vmcnt(0)
	ds_write_b128 v0, v[8:11]
	ds_write_b128 v0, v[4:7] offset:1536
	ds_write_b128 v0, v[12:15] offset:3072
	buffer_load_dword v0, off, s[28:31], 0 offset:308 ; 4-byte Folded Reload
	s_waitcnt vmcnt(0)
	ds_write_b128 v0, v[20:23]
	ds_write_b128 v0, v[16:19] offset:1536
	ds_write_b128 v0, v[24:27] offset:3072
	;; [unrolled: 5-line block ×6, first 2 shown]
	s_waitcnt lgkmcnt(0)
	s_barrier
	ds_read_b128 v[140:143], v63
	ds_read_b128 v[200:203], v63 offset:4608
	ds_read_b128 v[196:199], v63 offset:9216
	;; [unrolled: 1-line block ×13, first 2 shown]
	s_and_saveexec_b64 s[0:1], vcc
	s_cbranch_execz .LBB0_7
; %bb.6:
	ds_read_b128 v[112:115], v63 offset:3584
	ds_read_b128 v[116:119], v63 offset:8192
	;; [unrolled: 1-line block ×7, first 2 shown]
.LBB0_7:
	s_or_b64 exec, exec, s[0:1]
	s_waitcnt lgkmcnt(12)
	v_mul_f64 v[8:9], v[102:103], v[202:203]
	v_mul_f64 v[10:11], v[102:103], v[200:201]
	s_waitcnt lgkmcnt(11)
	v_mul_f64 v[12:13], v[110:111], v[198:199]
	v_mul_f64 v[14:15], v[110:111], v[196:197]
	;; [unrolled: 3-line block ×4, first 2 shown]
	v_mul_f64 v[16:17], v[106:107], v[194:195]
	v_mul_f64 v[18:19], v[106:107], v[192:193]
	v_fma_f64 v[8:9], v[100:101], v[200:201], v[8:9]
	v_fma_f64 v[10:11], v[100:101], v[202:203], -v[10:11]
	v_fma_f64 v[12:13], v[108:109], v[196:197], v[12:13]
	v_fma_f64 v[14:15], v[108:109], v[198:199], -v[14:15]
	v_mul_f64 v[20:21], v[98:99], v[186:187]
	v_mul_f64 v[22:23], v[98:99], v[184:185]
	v_fma_f64 v[24:25], v[120:121], v[180:181], v[24:25]
	v_fma_f64 v[26:27], v[120:121], v[182:183], -v[26:27]
	v_fma_f64 v[28:29], v[128:129], v[176:177], v[28:29]
	v_fma_f64 v[30:31], v[128:129], v[178:179], -v[30:31]
	;; [unrolled: 2-line block ×4, first 2 shown]
	s_mov_b32 s12, 0x37e14327
	s_mov_b32 s4, 0x36b3c0b5
	v_add_f64 v[64:65], v[8:9], v[28:29]
	v_add_f64 v[66:67], v[10:11], v[30:31]
	v_add_f64 v[8:9], v[8:9], -v[28:29]
	v_add_f64 v[10:11], v[10:11], -v[30:31]
	v_add_f64 v[28:29], v[12:13], v[24:25]
	v_add_f64 v[30:31], v[14:15], v[26:27]
	v_add_f64 v[12:13], v[12:13], -v[24:25]
	v_add_f64 v[14:15], v[14:15], -v[26:27]
	;; [unrolled: 4-line block ×4, first 2 shown]
	v_add_f64 v[64:65], v[64:65], -v[24:25]
	v_add_f64 v[66:67], v[66:67], -v[26:27]
	;; [unrolled: 1-line block ×4, first 2 shown]
	v_add_f64 v[72:73], v[16:17], v[12:13]
	v_add_f64 v[74:75], v[18:19], v[14:15]
	v_add_f64 v[76:77], v[16:17], -v[12:13]
	v_add_f64 v[78:79], v[18:19], -v[14:15]
	v_add_f64 v[20:21], v[24:25], v[20:21]
	v_add_f64 v[22:23], v[26:27], v[22:23]
	v_add_f64 v[12:13], v[12:13], -v[8:9]
	v_add_f64 v[14:15], v[14:15], -v[10:11]
	s_mov_b32 s14, 0xe976ee23
	s_mov_b32 s0, 0x429ad128
	;; [unrolled: 1-line block ×6, first 2 shown]
	v_add_f64 v[16:17], v[8:9], -v[16:17]
	v_add_f64 v[18:19], v[10:11], -v[18:19]
	v_add_f64 v[24:25], v[72:73], v[8:9]
	v_add_f64 v[26:27], v[74:75], v[10:11]
	v_add_f64 v[8:9], v[140:141], v[20:21]
	v_add_f64 v[10:11], v[142:143], v[22:23]
	v_mul_f64 v[64:65], v[64:65], s[12:13]
	v_mul_f64 v[66:67], v[66:67], s[12:13]
	;; [unrolled: 1-line block ×8, first 2 shown]
	s_mov_b32 s22, 0xaaaaaaaa
	s_mov_b32 s6, 0x5476071b
	;; [unrolled: 1-line block ×10, first 2 shown]
	s_waitcnt lgkmcnt(5)
	v_mul_f64 v[37:38], v[170:171], v[190:191]
	v_mul_f64 v[39:40], v[170:171], v[188:189]
	s_waitcnt lgkmcnt(4)
	v_mul_f64 v[41:42], v[174:175], v[146:147]
	v_mul_f64 v[43:44], v[174:175], v[144:145]
	;; [unrolled: 3-line block ×4, first 2 shown]
	v_fma_f64 v[20:21], v[20:21], s[22:23], v[8:9]
	v_fma_f64 v[22:23], v[22:23], s[22:23], v[10:11]
	;; [unrolled: 1-line block ×4, first 2 shown]
	v_fma_f64 v[72:73], v[68:69], s[6:7], -v[72:73]
	v_fma_f64 v[74:75], v[70:71], s[6:7], -v[74:75]
	;; [unrolled: 1-line block ×4, first 2 shown]
	v_fma_f64 v[68:69], v[16:17], s[24:25], v[76:77]
	v_fma_f64 v[70:71], v[18:19], s[24:25], v[78:79]
	v_fma_f64 v[16:17], v[16:17], s[20:21], -v[80:81]
	v_fma_f64 v[18:19], v[18:19], s[20:21], -v[82:83]
	s_mov_b32 s18, 0x37c3f68c
	s_mov_b32 s19, 0xbfdc38aa
	v_fma_f64 v[37:38], v[168:169], v[188:189], v[37:38]
	v_fma_f64 v[39:40], v[168:169], v[190:191], -v[39:40]
	v_mul_f64 v[45:46], v[158:159], v[150:151]
	v_mul_f64 v[47:48], v[158:159], v[148:149]
	;; [unrolled: 1-line block ×4, first 2 shown]
	v_fma_f64 v[41:42], v[172:173], v[144:145], v[41:42]
	v_fma_f64 v[43:44], v[172:173], v[146:147], -v[43:44]
	v_fma_f64 v[53:54], v[212:213], v[164:165], v[53:54]
	v_fma_f64 v[55:56], v[212:213], v[166:167], -v[55:56]
	v_fma_f64 v[12:13], v[12:13], s[0:1], -v[76:77]
	;; [unrolled: 1-line block ×3, first 2 shown]
	v_add_f64 v[64:65], v[64:65], v[20:21]
	v_add_f64 v[66:67], v[66:67], v[22:23]
	v_fma_f64 v[76:77], v[26:27], s[18:19], v[18:19]
	v_fma_f64 v[78:79], v[24:25], s[18:19], v[16:17]
	;; [unrolled: 1-line block ×3, first 2 shown]
	v_fma_f64 v[59:60], v[124:125], v[6:7], -v[59:60]
	v_fma_f64 v[45:46], v[156:157], v[148:149], v[45:46]
	v_fma_f64 v[47:48], v[156:157], v[150:151], -v[47:48]
	v_fma_f64 v[49:50], v[152:153], v[160:161], v[49:50]
	v_fma_f64 v[51:52], v[152:153], v[162:163], -v[51:52]
	v_add_f64 v[28:29], v[28:29], v[20:21]
	v_add_f64 v[30:31], v[30:31], v[22:23]
	;; [unrolled: 1-line block ×4, first 2 shown]
	v_fma_f64 v[70:71], v[26:27], s[18:19], v[70:71]
	v_fma_f64 v[68:69], v[24:25], s[18:19], v[68:69]
	;; [unrolled: 1-line block ×4, first 2 shown]
	v_add_f64 v[12:13], v[76:77], v[64:65]
	v_add_f64 v[14:15], v[66:67], -v[78:79]
	v_add_f64 v[24:25], v[64:65], -v[76:77]
	v_add_f64 v[26:27], v[78:79], v[66:67]
	v_add_f64 v[64:65], v[37:38], v[57:58]
	;; [unrolled: 1-line block ×3, first 2 shown]
	v_add_f64 v[37:38], v[37:38], -v[57:58]
	v_add_f64 v[39:40], v[39:40], -v[59:60]
	v_add_f64 v[57:58], v[41:42], v[53:54]
	v_add_f64 v[59:60], v[43:44], v[55:56]
	v_add_f64 v[41:42], v[41:42], -v[53:54]
	v_add_f64 v[43:44], v[43:44], -v[55:56]
	v_add_f64 v[53:54], v[45:46], v[49:50]
	v_add_f64 v[55:56], v[47:48], v[51:52]
	v_add_f64 v[45:46], v[49:50], -v[45:46]
	v_add_f64 v[47:48], v[51:52], -v[47:48]
	v_add_f64 v[49:50], v[57:58], v[64:65]
	v_add_f64 v[51:52], v[59:60], v[66:67]
	v_add_f64 v[16:17], v[72:73], -v[20:21]
	v_add_f64 v[18:19], v[22:23], v[74:75]
	v_add_f64 v[20:21], v[20:21], v[72:73]
	v_add_f64 v[22:23], v[74:75], -v[22:23]
	v_add_f64 v[72:73], v[57:58], -v[64:65]
	;; [unrolled: 1-line block ×7, first 2 shown]
	v_add_f64 v[76:77], v[45:46], v[41:42]
	v_add_f64 v[78:79], v[47:48], v[43:44]
	v_add_f64 v[80:81], v[45:46], -v[41:42]
	v_add_f64 v[82:83], v[47:48], -v[43:44]
	v_add_f64 v[49:50], v[53:54], v[49:50]
	v_add_f64 v[51:52], v[55:56], v[51:52]
	v_add_f64 v[41:42], v[41:42], -v[37:38]
	v_add_f64 v[43:44], v[43:44], -v[39:40]
	;; [unrolled: 1-line block ×4, first 2 shown]
	v_add_f64 v[37:38], v[76:77], v[37:38]
	v_add_f64 v[39:40], v[78:79], v[39:40]
	;; [unrolled: 1-line block ×4, first 2 shown]
	v_mul_f64 v[53:54], v[64:65], s[12:13]
	v_mul_f64 v[55:56], v[66:67], s[12:13]
	;; [unrolled: 1-line block ×8, first 2 shown]
	v_fma_f64 v[49:50], v[49:50], s[22:23], v[0:1]
	v_fma_f64 v[51:52], v[51:52], s[22:23], v[2:3]
	;; [unrolled: 1-line block ×4, first 2 shown]
	v_fma_f64 v[64:65], v[72:73], s[6:7], -v[64:65]
	v_fma_f64 v[66:67], v[74:75], s[6:7], -v[66:67]
	;; [unrolled: 1-line block ×4, first 2 shown]
	v_fma_f64 v[72:73], v[45:46], s[24:25], v[76:77]
	v_fma_f64 v[74:75], v[47:48], s[24:25], v[78:79]
	v_fma_f64 v[41:42], v[41:42], s[0:1], -v[76:77]
	v_fma_f64 v[43:44], v[43:44], s[0:1], -v[78:79]
	;; [unrolled: 1-line block ×4, first 2 shown]
	v_add_f64 v[57:58], v[57:58], v[49:50]
	v_add_f64 v[59:60], v[59:60], v[51:52]
	v_add_f64 v[64:65], v[64:65], v[49:50]
	v_add_f64 v[66:67], v[66:67], v[51:52]
	v_add_f64 v[53:54], v[53:54], v[49:50]
	v_add_f64 v[55:56], v[55:56], v[51:52]
	v_fma_f64 v[74:75], v[39:40], s[18:19], v[74:75]
	v_fma_f64 v[72:73], v[37:38], s[18:19], v[72:73]
	;; [unrolled: 1-line block ×6, first 2 shown]
	v_add_f64 v[4:5], v[70:71], v[28:29]
	v_add_f64 v[6:7], v[30:31], -v[68:69]
	v_add_f64 v[28:29], v[28:29], -v[70:71]
	v_add_f64 v[30:31], v[68:69], v[30:31]
	v_add_f64 v[37:38], v[74:75], v[57:58]
	v_add_f64 v[39:40], v[59:60], -v[72:73]
	v_add_f64 v[41:42], v[76:77], v[53:54]
	v_add_f64 v[43:44], v[55:56], -v[78:79]
	v_add_f64 v[45:46], v[64:65], -v[49:50]
	v_add_f64 v[47:48], v[51:52], v[66:67]
	v_add_f64 v[49:50], v[49:50], v[64:65]
	v_add_f64 v[51:52], v[66:67], -v[51:52]
	v_add_f64 v[53:54], v[53:54], -v[76:77]
	v_add_f64 v[55:56], v[78:79], v[55:56]
	v_add_f64 v[57:58], v[57:58], -v[74:75]
	v_add_f64 v[59:60], v[72:73], v[59:60]
	ds_write_b128 v63, v[8:11]
	ds_write_b128 v32, v[4:7] offset:4608
	ds_write_b128 v32, v[12:15] offset:9216
	ds_write_b128 v32, v[16:19] offset:13824
	ds_write_b128 v32, v[20:23] offset:18432
	ds_write_b128 v32, v[24:27] offset:23040
	ds_write_b128 v32, v[28:31] offset:27648
	ds_write_b128 v63, v[0:3] offset:1792
	ds_write_b128 v32, v[37:40] offset:6400
	ds_write_b128 v32, v[41:44] offset:11008
	ds_write_b128 v32, v[45:48] offset:15616
	ds_write_b128 v32, v[49:52] offset:20224
	ds_write_b128 v32, v[53:56] offset:24832
	ds_write_b128 v32, v[57:60] offset:29440
	s_and_saveexec_b64 s[26:27], vcc
	s_cbranch_execz .LBB0_9
; %bb.8:
	buffer_load_dword v24, off, s[28:31], 0 offset:556 ; 4-byte Folded Reload
	buffer_load_dword v25, off, s[28:31], 0 offset:560 ; 4-byte Folded Reload
	;; [unrolled: 1-line block ×20, first 2 shown]
	v_mul_f64 v[8:9], v[94:95], v[236:237]
	v_mul_f64 v[6:7], v[94:95], v[238:239]
	v_fma_f64 v[8:9], v[92:93], v[238:239], -v[8:9]
	v_fma_f64 v[6:7], v[92:93], v[236:237], v[6:7]
	s_waitcnt vmcnt(16)
	v_mul_f64 v[0:1], v[26:27], v[248:249]
	s_waitcnt vmcnt(12)
	v_mul_f64 v[2:3], v[39:40], v[138:139]
	s_waitcnt vmcnt(8)
	v_mul_f64 v[10:11], v[30:31], v[116:117]
	s_waitcnt vmcnt(4)
	v_mul_f64 v[12:13], v[47:48], v[33:34]
	s_waitcnt vmcnt(0)
	v_mul_f64 v[14:15], v[43:44], v[132:133]
	v_mul_f64 v[16:17], v[43:44], v[134:135]
	v_mul_f64 v[18:19], v[47:48], v[35:36]
	v_mul_f64 v[4:5], v[30:31], v[118:119]
	v_fma_f64 v[0:1], v[24:25], v[246:247], v[0:1]
	v_fma_f64 v[2:3], v[37:38], v[136:137], v[2:3]
	v_fma_f64 v[10:11], v[28:29], v[118:119], -v[10:11]
	v_mul_f64 v[20:21], v[39:40], v[136:137]
	v_mul_f64 v[22:23], v[26:27], v[246:247]
	v_fma_f64 v[12:13], v[45:46], v[35:36], -v[12:13]
	v_fma_f64 v[14:15], v[41:42], v[134:135], -v[14:15]
	v_fma_f64 v[16:17], v[41:42], v[132:133], v[16:17]
	v_fma_f64 v[18:19], v[45:46], v[33:34], v[18:19]
	;; [unrolled: 1-line block ×3, first 2 shown]
	v_add_f64 v[28:29], v[0:1], -v[2:3]
	v_fma_f64 v[20:21], v[37:38], v[138:139], -v[20:21]
	v_fma_f64 v[22:23], v[24:25], v[248:249], -v[22:23]
	v_add_f64 v[24:25], v[10:11], v[8:9]
	v_add_f64 v[26:27], v[14:15], v[12:13]
	;; [unrolled: 1-line block ×3, first 2 shown]
	v_add_f64 v[30:31], v[16:17], -v[18:19]
	v_add_f64 v[37:38], v[4:5], -v[6:7]
	v_add_f64 v[4:5], v[4:5], v[6:7]
	v_add_f64 v[16:17], v[16:17], v[18:19]
	;; [unrolled: 1-line block ×3, first 2 shown]
	v_add_f64 v[20:21], v[22:23], -v[20:21]
	v_add_f64 v[35:36], v[26:27], v[24:25]
	v_add_f64 v[12:13], v[14:15], -v[12:13]
	v_add_f64 v[39:40], v[28:29], -v[30:31]
	;; [unrolled: 1-line block ×4, first 2 shown]
	v_add_f64 v[41:42], v[16:17], v[4:5]
	v_add_f64 v[6:7], v[24:25], -v[33:34]
	v_add_f64 v[14:15], v[30:31], -v[37:38]
	v_add_f64 v[18:19], v[33:34], v[35:36]
	v_add_f64 v[35:36], v[37:38], -v[28:29]
	v_mul_f64 v[39:40], v[39:40], s[14:15]
	v_add_f64 v[28:29], v[28:29], v[30:31]
	v_add_f64 v[49:50], v[12:13], -v[8:9]
	v_add_f64 v[22:23], v[43:44], -v[16:17]
	v_mul_f64 v[45:46], v[6:7], s[12:13]
	v_add_f64 v[6:7], v[33:34], -v[26:27]
	v_add_f64 v[2:3], v[114:115], v[18:19]
	v_add_f64 v[33:34], v[43:44], v[41:42]
	v_fma_f64 v[41:42], v[35:36], s[24:25], v[39:40]
	v_add_f64 v[28:29], v[28:29], v[37:38]
	v_add_f64 v[24:25], v[26:27], -v[24:25]
	v_mul_f64 v[10:11], v[10:11], s[12:13]
	v_mul_f64 v[43:44], v[14:15], s[0:1]
	v_fma_f64 v[47:48], v[6:7], s[4:5], v[45:46]
	v_fma_f64 v[18:19], v[18:19], s[22:23], v[2:3]
	v_add_f64 v[0:1], v[112:113], v[33:34]
	v_mul_f64 v[26:27], v[6:7], s[4:5]
	v_fma_f64 v[30:31], v[28:29], s[18:19], v[41:42]
	v_add_f64 v[41:42], v[20:21], -v[12:13]
	v_add_f64 v[12:13], v[20:21], v[12:13]
	v_add_f64 v[4:5], v[16:17], -v[4:5]
	v_mul_f64 v[16:17], v[49:50], s[0:1]
	v_add_f64 v[37:38], v[47:48], v[18:19]
	v_add_f64 v[47:48], v[8:9], -v[20:21]
	v_mul_f64 v[20:21], v[22:23], s[4:5]
	v_fma_f64 v[33:34], v[33:34], s[22:23], v[0:1]
	v_mul_f64 v[41:42], v[41:42], s[14:15]
	v_fma_f64 v[22:23], v[22:23], s[4:5], v[10:11]
	v_fma_f64 v[35:36], v[35:36], s[20:21], -v[43:44]
	v_fma_f64 v[43:44], v[24:25], s[16:17], -v[45:46]
	v_add_f64 v[8:9], v[12:13], v[8:9]
	v_fma_f64 v[12:13], v[24:25], s[6:7], -v[26:27]
	v_fma_f64 v[14:15], v[14:15], s[0:1], -v[39:40]
	;; [unrolled: 1-line block ×3, first 2 shown]
	v_fma_f64 v[45:46], v[47:48], s[24:25], v[41:42]
	v_fma_f64 v[16:17], v[47:48], s[20:21], -v[16:17]
	v_fma_f64 v[4:5], v[4:5], s[6:7], -v[20:21]
	;; [unrolled: 1-line block ×3, first 2 shown]
	v_fma_f64 v[24:25], v[28:29], s[18:19], v[35:36]
	v_add_f64 v[26:27], v[43:44], v[18:19]
	v_add_f64 v[12:13], v[12:13], v[18:19]
	v_fma_f64 v[18:19], v[28:29], s[18:19], v[14:15]
	v_add_f64 v[28:29], v[22:23], v[33:34]
	v_fma_f64 v[35:36], v[8:9], s[18:19], v[45:46]
	;; [unrolled: 2-line block ×4, first 2 shown]
	v_add_f64 v[10:11], v[24:25], v[26:27]
	v_add_f64 v[22:23], v[26:27], -v[24:25]
	v_add_f64 v[26:27], v[37:38], -v[30:31]
	v_add_f64 v[24:25], v[35:36], v[28:29]
	v_add_f64 v[14:15], v[12:13], -v[18:19]
	v_add_f64 v[20:21], v[41:42], v[39:40]
	v_add_f64 v[18:19], v[18:19], v[12:13]
	v_add_f64 v[16:17], v[4:5], -v[8:9]
	v_add_f64 v[12:13], v[8:9], v[4:5]
	v_add_f64 v[8:9], v[39:40], -v[41:42]
	;; [unrolled: 2-line block ×3, first 2 shown]
	ds_write_b128 v63, v[0:3] offset:3584
	ds_write_b128 v32, v[24:27] offset:8192
	ds_write_b128 v32, v[20:23] offset:12800
	ds_write_b128 v32, v[16:19] offset:17408
	ds_write_b128 v32, v[12:15] offset:22016
	ds_write_b128 v32, v[8:11] offset:26624
	ds_write_b128 v32, v[4:7] offset:31232
.LBB0_9:
	s_or_b64 exec, exec, s[26:27]
	s_waitcnt lgkmcnt(0)
	s_barrier
	ds_read_b128 v[0:3], v63
	ds_read_b128 v[4:7], v63 offset:1792
	buffer_load_dword v20, off, s[28:31], 0 offset:104 ; 4-byte Folded Reload
	buffer_load_dword v21, off, s[28:31], 0 offset:108 ; 4-byte Folded Reload
	;; [unrolled: 1-line block ×6, first 2 shown]
	v_mad_u64_u32 v[18:19], s[0:1], s8, v62, 0
	v_mov_b32_e32 v24, s3
	s_mul_hi_u32 s3, s8, 0x3f00
	s_waitcnt vmcnt(2) lgkmcnt(1)
	v_mul_f64 v[8:9], v[22:23], v[2:3]
	s_waitcnt vmcnt(1)
	v_mov_b32_e32 v13, v10
	s_waitcnt vmcnt(0)
	v_mul_f64 v[10:11], v[22:23], v[0:1]
	v_mad_u64_u32 v[16:17], s[0:1], s10, v13, 0
	v_mov_b32_e32 v12, v17
	v_fma_f64 v[0:1], v[20:21], v[0:1], v[8:9]
	v_mad_u64_u32 v[8:9], s[0:1], s11, v13, v[12:13]
	v_mov_b32_e32 v9, v19
	v_mad_u64_u32 v[12:13], s[4:5], s9, v62, v[9:10]
	v_fma_f64 v[2:3], v[20:21], v[2:3], -v[10:11]
	v_mov_b32_e32 v17, v8
	ds_read_b128 v[8:11], v63 offset:16128
	v_mov_b32_e32 v19, v12
	ds_read_b128 v[12:15], v63 offset:14336
	buffer_load_dword v25, off, s[28:31], 0 ; 4-byte Folded Reload
	buffer_load_dword v26, off, s[28:31], 0 offset:4 ; 4-byte Folded Reload
	buffer_load_dword v27, off, s[28:31], 0 offset:8 ; 4-byte Folded Reload
	;; [unrolled: 1-line block ×3, first 2 shown]
	s_mov_b32 s0, 0x10410410
	s_mov_b32 s1, 0x3f404104
	v_mul_f64 v[0:1], v[0:1], s[0:1]
	v_mul_f64 v[2:3], v[2:3], s[0:1]
	v_lshlrev_b64 v[16:17], 4, v[16:17]
	s_mul_hi_u32 s5, s8, 0xffffc800
	v_add_co_u32_e32 v30, vcc, s2, v16
	v_addc_co_u32_e32 v31, vcc, v24, v17, vcc
	v_lshlrev_b64 v[16:17], 4, v[18:19]
	s_mul_i32 s2, s9, 0x3f00
	v_add_co_u32_e32 v16, vcc, v30, v16
	v_addc_co_u32_e32 v17, vcc, v31, v17, vcc
	global_store_dwordx4 v[16:17], v[0:3], off
	s_add_i32 s2, s3, s2
	s_mul_i32 s3, s8, 0x3f00
	s_mul_i32 s4, s9, 0xffffc800
	s_sub_i32 s5, s5, s8
	s_add_i32 s4, s5, s4
	s_mul_i32 s5, s8, 0xffffc800
	v_mov_b32_e32 v32, s4
	s_waitcnt vmcnt(1) lgkmcnt(1)
	v_mul_f64 v[20:21], v[27:28], v[10:11]
	v_mul_f64 v[22:23], v[27:28], v[8:9]
	v_fma_f64 v[8:9], v[25:26], v[8:9], v[20:21]
	v_fma_f64 v[10:11], v[25:26], v[10:11], -v[22:23]
	buffer_load_dword v20, off, s[28:31], 0 offset:16 ; 4-byte Folded Reload
	buffer_load_dword v21, off, s[28:31], 0 offset:20 ; 4-byte Folded Reload
	;; [unrolled: 1-line block ×4, first 2 shown]
	v_mul_f64 v[0:1], v[8:9], s[0:1]
	v_mul_f64 v[2:3], v[10:11], s[0:1]
	v_mov_b32_e32 v10, s2
	s_waitcnt vmcnt(0)
	v_mul_f64 v[8:9], v[22:23], v[6:7]
	v_mul_f64 v[18:19], v[22:23], v[4:5]
	v_fma_f64 v[4:5], v[20:21], v[4:5], v[8:9]
	v_fma_f64 v[6:7], v[20:21], v[6:7], -v[18:19]
	v_add_co_u32_e32 v20, vcc, s3, v16
	v_addc_co_u32_e32 v21, vcc, v17, v10, vcc
	global_store_dwordx4 v[20:21], v[0:3], off
	ds_read_b128 v[0:3], v63 offset:17920
	ds_read_b128 v[8:11], v63 offset:19712
	buffer_load_dword v26, off, s[28:31], 0 offset:64 ; 4-byte Folded Reload
	buffer_load_dword v27, off, s[28:31], 0 offset:68 ; 4-byte Folded Reload
	;; [unrolled: 1-line block ×4, first 2 shown]
	ds_read_b128 v[16:19], v63 offset:3584
	v_mul_f64 v[4:5], v[4:5], s[0:1]
	v_mul_f64 v[6:7], v[6:7], s[0:1]
	v_add_co_u32_e32 v20, vcc, s5, v20
	v_addc_co_u32_e32 v21, vcc, v21, v32, vcc
	v_mov_b32_e32 v32, s2
	s_waitcnt vmcnt(0) lgkmcnt(2)
	v_mul_f64 v[22:23], v[28:29], v[2:3]
	v_mul_f64 v[24:25], v[28:29], v[0:1]
	v_fma_f64 v[22:23], v[26:27], v[0:1], v[22:23]
	v_fma_f64 v[24:25], v[26:27], v[2:3], -v[24:25]
	ds_read_b128 v[0:3], v63 offset:5376
	buffer_load_dword v33, off, s[28:31], 0 offset:48 ; 4-byte Folded Reload
	buffer_load_dword v34, off, s[28:31], 0 offset:52 ; 4-byte Folded Reload
	;; [unrolled: 1-line block ×4, first 2 shown]
	s_waitcnt vmcnt(0) lgkmcnt(1)
	v_mul_f64 v[26:27], v[35:36], v[18:19]
	v_mul_f64 v[28:29], v[35:36], v[16:17]
	global_store_dwordx4 v[20:21], v[4:7], off
	v_add_co_u32_e32 v20, vcc, s3, v20
	v_mul_f64 v[4:5], v[22:23], s[0:1]
	v_mul_f64 v[6:7], v[24:25], s[0:1]
	v_addc_co_u32_e32 v21, vcc, v21, v32, vcc
	v_fma_f64 v[16:17], v[33:34], v[16:17], v[26:27]
	v_fma_f64 v[18:19], v[33:34], v[18:19], -v[28:29]
	buffer_load_dword v33, off, s[28:31], 0 offset:32 ; 4-byte Folded Reload
	buffer_load_dword v34, off, s[28:31], 0 offset:36 ; 4-byte Folded Reload
	;; [unrolled: 1-line block ×4, first 2 shown]
	v_mov_b32_e32 v26, s4
	v_mov_b32_e32 v32, s4
	global_store_dwordx4 v[20:21], v[4:7], off
	v_add_co_u32_e32 v20, vcc, s5, v20
	v_mul_f64 v[4:5], v[16:17], s[0:1]
	v_mul_f64 v[6:7], v[18:19], s[0:1]
	v_addc_co_u32_e32 v21, vcc, v21, v26, vcc
	v_mov_b32_e32 v26, s2
	s_waitcnt vmcnt(1)
	v_mul_f64 v[22:23], v[35:36], v[10:11]
	v_mul_f64 v[24:25], v[35:36], v[8:9]
	v_fma_f64 v[8:9], v[33:34], v[8:9], v[22:23]
	v_fma_f64 v[10:11], v[33:34], v[10:11], -v[24:25]
	buffer_load_dword v22, off, s[28:31], 0 offset:256 ; 4-byte Folded Reload
	buffer_load_dword v23, off, s[28:31], 0 offset:260 ; 4-byte Folded Reload
	;; [unrolled: 1-line block ×4, first 2 shown]
	s_waitcnt vmcnt(0) lgkmcnt(0)
	v_mul_f64 v[16:17], v[24:25], v[2:3]
	v_mul_f64 v[18:19], v[24:25], v[0:1]
	global_store_dwordx4 v[20:21], v[4:7], off
	v_add_co_u32_e32 v20, vcc, s3, v20
	v_mul_f64 v[4:5], v[8:9], s[0:1]
	v_mul_f64 v[6:7], v[10:11], s[0:1]
	ds_read_b128 v[8:11], v63 offset:21504
	v_fma_f64 v[16:17], v[22:23], v[0:1], v[16:17]
	v_fma_f64 v[18:19], v[22:23], v[2:3], -v[18:19]
	ds_read_b128 v[0:3], v63 offset:23296
	buffer_load_dword v33, off, s[28:31], 0 offset:224 ; 4-byte Folded Reload
	buffer_load_dword v34, off, s[28:31], 0 offset:228 ; 4-byte Folded Reload
	;; [unrolled: 1-line block ×4, first 2 shown]
	v_addc_co_u32_e32 v21, vcc, v21, v26, vcc
	global_store_dwordx4 v[20:21], v[4:7], off
	v_add_co_u32_e32 v20, vcc, s5, v20
	v_mul_f64 v[4:5], v[16:17], s[0:1]
	v_mul_f64 v[6:7], v[18:19], s[0:1]
	ds_read_b128 v[16:19], v63 offset:7168
	v_addc_co_u32_e32 v21, vcc, v21, v32, vcc
	v_mov_b32_e32 v32, s2
	s_waitcnt vmcnt(1) lgkmcnt(2)
	v_mul_f64 v[22:23], v[35:36], v[10:11]
	v_mul_f64 v[24:25], v[35:36], v[8:9]
	v_fma_f64 v[22:23], v[33:34], v[8:9], v[22:23]
	v_fma_f64 v[24:25], v[33:34], v[10:11], -v[24:25]
	ds_read_b128 v[8:11], v63 offset:8960
	buffer_load_dword v33, off, s[28:31], 0 offset:160 ; 4-byte Folded Reload
	buffer_load_dword v34, off, s[28:31], 0 offset:164 ; 4-byte Folded Reload
	;; [unrolled: 1-line block ×4, first 2 shown]
	s_waitcnt vmcnt(0) lgkmcnt(1)
	v_mul_f64 v[26:27], v[35:36], v[18:19]
	v_mul_f64 v[28:29], v[35:36], v[16:17]
	global_store_dwordx4 v[20:21], v[4:7], off
	v_add_co_u32_e32 v20, vcc, s3, v20
	v_mul_f64 v[4:5], v[22:23], s[0:1]
	v_mul_f64 v[6:7], v[24:25], s[0:1]
	v_addc_co_u32_e32 v21, vcc, v21, v32, vcc
	v_fma_f64 v[16:17], v[33:34], v[16:17], v[26:27]
	v_fma_f64 v[18:19], v[33:34], v[18:19], -v[28:29]
	buffer_load_dword v33, off, s[28:31], 0 offset:144 ; 4-byte Folded Reload
	buffer_load_dword v34, off, s[28:31], 0 offset:148 ; 4-byte Folded Reload
	;; [unrolled: 1-line block ×4, first 2 shown]
	v_mov_b32_e32 v26, s4
	v_mov_b32_e32 v32, s4
	global_store_dwordx4 v[20:21], v[4:7], off
	v_add_co_u32_e32 v20, vcc, s5, v20
	v_mul_f64 v[4:5], v[16:17], s[0:1]
	v_mul_f64 v[6:7], v[18:19], s[0:1]
	v_addc_co_u32_e32 v21, vcc, v21, v26, vcc
	v_mov_b32_e32 v26, s2
	s_waitcnt vmcnt(1)
	v_mul_f64 v[22:23], v[35:36], v[2:3]
	v_mul_f64 v[24:25], v[35:36], v[0:1]
	v_fma_f64 v[0:1], v[33:34], v[0:1], v[22:23]
	v_fma_f64 v[2:3], v[33:34], v[2:3], -v[24:25]
	buffer_load_dword v22, off, s[28:31], 0 offset:208 ; 4-byte Folded Reload
	buffer_load_dword v23, off, s[28:31], 0 offset:212 ; 4-byte Folded Reload
	;; [unrolled: 1-line block ×4, first 2 shown]
	v_mul_f64 v[0:1], v[0:1], s[0:1]
	global_store_dwordx4 v[20:21], v[4:7], off
	ds_read_b128 v[4:7], v63 offset:25088
	v_mul_f64 v[2:3], v[2:3], s[0:1]
	v_add_co_u32_e32 v20, vcc, s3, v20
	v_addc_co_u32_e32 v21, vcc, v21, v26, vcc
	s_waitcnt vmcnt(1) lgkmcnt(1)
	v_mul_f64 v[16:17], v[24:25], v[10:11]
	v_mul_f64 v[18:19], v[24:25], v[8:9]
	v_fma_f64 v[16:17], v[22:23], v[8:9], v[16:17]
	v_fma_f64 v[18:19], v[22:23], v[10:11], -v[18:19]
	ds_read_b128 v[8:11], v63 offset:26880
	buffer_load_dword v33, off, s[28:31], 0 offset:272 ; 4-byte Folded Reload
	buffer_load_dword v34, off, s[28:31], 0 offset:276 ; 4-byte Folded Reload
	buffer_load_dword v35, off, s[28:31], 0 offset:280 ; 4-byte Folded Reload
	buffer_load_dword v36, off, s[28:31], 0 offset:284 ; 4-byte Folded Reload
	s_waitcnt vmcnt(0) lgkmcnt(1)
	v_mul_f64 v[22:23], v[35:36], v[6:7]
	v_mul_f64 v[24:25], v[35:36], v[4:5]
	global_store_dwordx4 v[20:21], v[0:3], off
	v_add_co_u32_e32 v20, vcc, s5, v20
	v_mul_f64 v[0:1], v[16:17], s[0:1]
	v_mul_f64 v[2:3], v[18:19], s[0:1]
	ds_read_b128 v[16:19], v63 offset:10752
	v_fma_f64 v[22:23], v[33:34], v[4:5], v[22:23]
	v_fma_f64 v[24:25], v[33:34], v[6:7], -v[24:25]
	ds_read_b128 v[4:7], v63 offset:12544
	buffer_load_dword v33, off, s[28:31], 0 offset:128 ; 4-byte Folded Reload
	buffer_load_dword v34, off, s[28:31], 0 offset:132 ; 4-byte Folded Reload
	buffer_load_dword v35, off, s[28:31], 0 offset:136 ; 4-byte Folded Reload
	buffer_load_dword v36, off, s[28:31], 0 offset:140 ; 4-byte Folded Reload
	v_addc_co_u32_e32 v21, vcc, v21, v32, vcc
	global_store_dwordx4 v[20:21], v[0:3], off
	v_mov_b32_e32 v32, s2
	v_mul_f64 v[0:1], v[22:23], s[0:1]
	v_mul_f64 v[2:3], v[24:25], s[0:1]
	v_add_co_u32_e32 v20, vcc, s3, v20
	v_addc_co_u32_e32 v21, vcc, v21, v32, vcc
	s_waitcnt vmcnt(1) lgkmcnt(1)
	v_mul_f64 v[26:27], v[35:36], v[18:19]
	v_mul_f64 v[28:29], v[35:36], v[16:17]
	v_fma_f64 v[16:17], v[33:34], v[16:17], v[26:27]
	v_fma_f64 v[18:19], v[33:34], v[18:19], -v[28:29]
	buffer_load_dword v33, off, s[28:31], 0 offset:176 ; 4-byte Folded Reload
	buffer_load_dword v34, off, s[28:31], 0 offset:180 ; 4-byte Folded Reload
	;; [unrolled: 1-line block ×4, first 2 shown]
	v_mov_b32_e32 v26, s4
	global_store_dwordx4 v[20:21], v[0:3], off
	v_add_co_u32_e32 v20, vcc, s5, v20
	v_addc_co_u32_e32 v21, vcc, v21, v26, vcc
	v_mul_f64 v[0:1], v[16:17], s[0:1]
	v_mul_f64 v[2:3], v[18:19], s[0:1]
	v_mov_b32_e32 v26, s2
	s_waitcnt vmcnt(1)
	v_mul_f64 v[22:23], v[35:36], v[10:11]
	v_mul_f64 v[24:25], v[35:36], v[8:9]
	v_fma_f64 v[8:9], v[33:34], v[8:9], v[22:23]
	v_fma_f64 v[10:11], v[33:34], v[10:11], -v[24:25]
	buffer_load_dword v22, off, s[28:31], 0 offset:88 ; 4-byte Folded Reload
	buffer_load_dword v23, off, s[28:31], 0 offset:92 ; 4-byte Folded Reload
	;; [unrolled: 1-line block ×4, first 2 shown]
	s_waitcnt vmcnt(0) lgkmcnt(0)
	v_mul_f64 v[16:17], v[24:25], v[6:7]
	v_mul_f64 v[18:19], v[24:25], v[4:5]
	global_store_dwordx4 v[20:21], v[0:3], off
	v_add_co_u32_e32 v20, vcc, s3, v20
	v_mul_f64 v[0:1], v[8:9], s[0:1]
	v_mul_f64 v[2:3], v[10:11], s[0:1]
	ds_read_b128 v[8:11], v63 offset:28672
	v_fma_f64 v[16:17], v[22:23], v[4:5], v[16:17]
	v_fma_f64 v[18:19], v[22:23], v[6:7], -v[18:19]
	ds_read_b128 v[4:7], v63 offset:30464
	buffer_load_dword v32, off, s[28:31], 0 offset:192 ; 4-byte Folded Reload
	buffer_load_dword v33, off, s[28:31], 0 offset:196 ; 4-byte Folded Reload
	;; [unrolled: 1-line block ×4, first 2 shown]
	v_addc_co_u32_e32 v21, vcc, v21, v26, vcc
	global_store_dwordx4 v[20:21], v[0:3], off
	s_waitcnt vmcnt(1) lgkmcnt(1)
	v_mul_f64 v[22:23], v[34:35], v[10:11]
	v_mul_f64 v[24:25], v[34:35], v[8:9]
	;; [unrolled: 1-line block ×4, first 2 shown]
	v_mov_b32_e32 v19, s4
	v_add_co_u32_e32 v18, vcc, s5, v20
	v_addc_co_u32_e32 v19, vcc, v21, v19, vcc
	v_fma_f64 v[8:9], v[32:33], v[8:9], v[22:23]
	buffer_load_dword v22, off, s[28:31], 0 offset:120 ; 4-byte Folded Reload
	v_fma_f64 v[10:11], v[32:33], v[10:11], -v[24:25]
	global_store_dwordx4 v[18:19], v[0:3], off
	buffer_load_dword v32, off, s[28:31], 0 offset:240 ; 4-byte Folded Reload
	buffer_load_dword v33, off, s[28:31], 0 offset:244 ; 4-byte Folded Reload
	buffer_load_dword v34, off, s[28:31], 0 offset:248 ; 4-byte Folded Reload
	buffer_load_dword v35, off, s[28:31], 0 offset:252 ; 4-byte Folded Reload
	v_mul_f64 v[2:3], v[10:11], s[0:1]
	s_waitcnt vmcnt(5)
	v_mad_u64_u32 v[16:17], s[2:3], s8, v22, 0
	s_waitcnt vmcnt(0)
	v_mul_f64 v[10:11], v[34:35], v[14:15]
	v_mov_b32_e32 v0, v17
	v_mad_u64_u32 v[20:21], s[2:3], s9, v22, v[0:1]
	v_mul_f64 v[0:1], v[8:9], s[0:1]
	v_mov_b32_e32 v17, v20
	v_lshlrev_b64 v[8:9], 4, v[16:17]
	v_mul_f64 v[16:17], v[34:35], v[12:13]
	buffer_load_dword v34, off, s[28:31], 0 offset:288 ; 4-byte Folded Reload
	buffer_load_dword v35, off, s[28:31], 0 offset:292 ; 4-byte Folded Reload
	;; [unrolled: 1-line block ×5, first 2 shown]
	v_fma_f64 v[10:11], v[32:33], v[12:13], v[10:11]
	v_add_co_u32_e32 v8, vcc, v30, v8
	v_addc_co_u32_e32 v9, vcc, v31, v9, vcc
	v_fma_f64 v[12:13], v[32:33], v[14:15], -v[16:17]
	global_store_dwordx4 v[8:9], v[0:3], off
	s_waitcnt vmcnt(2) lgkmcnt(0)
	v_mul_f64 v[20:21], v[36:37], v[6:7]
	v_mul_f64 v[22:23], v[36:37], v[4:5]
	s_waitcnt vmcnt(1)
	v_mad_u64_u32 v[24:25], s[2:3], s8, v26, 0
	v_mul_f64 v[2:3], v[12:13], s[0:1]
	v_mov_b32_e32 v0, v25
	v_mad_u64_u32 v[8:9], s[2:3], s9, v26, v[0:1]
	v_fma_f64 v[4:5], v[34:35], v[4:5], v[20:21]
	v_fma_f64 v[6:7], v[34:35], v[6:7], -v[22:23]
	v_mul_f64 v[0:1], v[10:11], s[0:1]
	v_mov_b32_e32 v10, 0x4600
	v_mov_b32_e32 v25, v8
	v_lshlrev_b64 v[8:9], 4, v[24:25]
	v_add_co_u32_e32 v8, vcc, v30, v8
	v_mul_f64 v[4:5], v[4:5], s[0:1]
	v_mul_f64 v[6:7], v[6:7], s[0:1]
	v_mad_u64_u32 v[10:11], s[0:1], s8, v10, v[18:19]
	s_mul_i32 s0, s9, 0x4600
	v_addc_co_u32_e32 v9, vcc, v31, v9, vcc
	v_add_u32_e32 v11, s0, v11
	global_store_dwordx4 v[8:9], v[0:3], off
	global_store_dwordx4 v[10:11], v[4:7], off
.LBB0_10:
	s_endpgm
	.section	.rodata,"a",@progbits
	.p2align	6, 0x0
	.amdhsa_kernel bluestein_single_fwd_len2016_dim1_dp_op_CI_CI
		.amdhsa_group_segment_fixed_size 64512
		.amdhsa_private_segment_fixed_size 640
		.amdhsa_kernarg_size 104
		.amdhsa_user_sgpr_count 6
		.amdhsa_user_sgpr_private_segment_buffer 1
		.amdhsa_user_sgpr_dispatch_ptr 0
		.amdhsa_user_sgpr_queue_ptr 0
		.amdhsa_user_sgpr_kernarg_segment_ptr 1
		.amdhsa_user_sgpr_dispatch_id 0
		.amdhsa_user_sgpr_flat_scratch_init 0
		.amdhsa_user_sgpr_private_segment_size 0
		.amdhsa_uses_dynamic_stack 0
		.amdhsa_system_sgpr_private_segment_wavefront_offset 1
		.amdhsa_system_sgpr_workgroup_id_x 1
		.amdhsa_system_sgpr_workgroup_id_y 0
		.amdhsa_system_sgpr_workgroup_id_z 0
		.amdhsa_system_sgpr_workgroup_info 0
		.amdhsa_system_vgpr_workitem_id 0
		.amdhsa_next_free_vgpr 256
		.amdhsa_next_free_sgpr 32
		.amdhsa_reserve_vcc 1
		.amdhsa_reserve_flat_scratch 0
		.amdhsa_float_round_mode_32 0
		.amdhsa_float_round_mode_16_64 0
		.amdhsa_float_denorm_mode_32 3
		.amdhsa_float_denorm_mode_16_64 3
		.amdhsa_dx10_clamp 1
		.amdhsa_ieee_mode 1
		.amdhsa_fp16_overflow 0
		.amdhsa_exception_fp_ieee_invalid_op 0
		.amdhsa_exception_fp_denorm_src 0
		.amdhsa_exception_fp_ieee_div_zero 0
		.amdhsa_exception_fp_ieee_overflow 0
		.amdhsa_exception_fp_ieee_underflow 0
		.amdhsa_exception_fp_ieee_inexact 0
		.amdhsa_exception_int_div_zero 0
	.end_amdhsa_kernel
	.text
.Lfunc_end0:
	.size	bluestein_single_fwd_len2016_dim1_dp_op_CI_CI, .Lfunc_end0-bluestein_single_fwd_len2016_dim1_dp_op_CI_CI
                                        ; -- End function
	.section	.AMDGPU.csdata,"",@progbits
; Kernel info:
; codeLenInByte = 29604
; NumSgprs: 36
; NumVgprs: 256
; ScratchSize: 640
; MemoryBound: 0
; FloatMode: 240
; IeeeMode: 1
; LDSByteSize: 64512 bytes/workgroup (compile time only)
; SGPRBlocks: 4
; VGPRBlocks: 63
; NumSGPRsForWavesPerEU: 36
; NumVGPRsForWavesPerEU: 256
; Occupancy: 1
; WaveLimiterHint : 1
; COMPUTE_PGM_RSRC2:SCRATCH_EN: 1
; COMPUTE_PGM_RSRC2:USER_SGPR: 6
; COMPUTE_PGM_RSRC2:TRAP_HANDLER: 0
; COMPUTE_PGM_RSRC2:TGID_X_EN: 1
; COMPUTE_PGM_RSRC2:TGID_Y_EN: 0
; COMPUTE_PGM_RSRC2:TGID_Z_EN: 0
; COMPUTE_PGM_RSRC2:TIDIG_COMP_CNT: 0
	.type	__hip_cuid_594ffe5100938f24,@object ; @__hip_cuid_594ffe5100938f24
	.section	.bss,"aw",@nobits
	.globl	__hip_cuid_594ffe5100938f24
__hip_cuid_594ffe5100938f24:
	.byte	0                               ; 0x0
	.size	__hip_cuid_594ffe5100938f24, 1

	.ident	"AMD clang version 19.0.0git (https://github.com/RadeonOpenCompute/llvm-project roc-6.4.0 25133 c7fe45cf4b819c5991fe208aaa96edf142730f1d)"
	.section	".note.GNU-stack","",@progbits
	.addrsig
	.addrsig_sym __hip_cuid_594ffe5100938f24
	.amdgpu_metadata
---
amdhsa.kernels:
  - .args:
      - .actual_access:  read_only
        .address_space:  global
        .offset:         0
        .size:           8
        .value_kind:     global_buffer
      - .actual_access:  read_only
        .address_space:  global
        .offset:         8
        .size:           8
        .value_kind:     global_buffer
      - .actual_access:  read_only
        .address_space:  global
        .offset:         16
        .size:           8
        .value_kind:     global_buffer
      - .actual_access:  read_only
        .address_space:  global
        .offset:         24
        .size:           8
        .value_kind:     global_buffer
      - .actual_access:  read_only
        .address_space:  global
        .offset:         32
        .size:           8
        .value_kind:     global_buffer
      - .offset:         40
        .size:           8
        .value_kind:     by_value
      - .address_space:  global
        .offset:         48
        .size:           8
        .value_kind:     global_buffer
      - .address_space:  global
        .offset:         56
        .size:           8
        .value_kind:     global_buffer
      - .address_space:  global
        .offset:         64
        .size:           8
        .value_kind:     global_buffer
      - .address_space:  global
        .offset:         72
        .size:           8
        .value_kind:     global_buffer
      - .offset:         80
        .size:           4
        .value_kind:     by_value
      - .address_space:  global
        .offset:         88
        .size:           8
        .value_kind:     global_buffer
      - .address_space:  global
        .offset:         96
        .size:           8
        .value_kind:     global_buffer
    .group_segment_fixed_size: 64512
    .kernarg_segment_align: 8
    .kernarg_segment_size: 104
    .language:       OpenCL C
    .language_version:
      - 2
      - 0
    .max_flat_workgroup_size: 224
    .name:           bluestein_single_fwd_len2016_dim1_dp_op_CI_CI
    .private_segment_fixed_size: 640
    .sgpr_count:     36
    .sgpr_spill_count: 0
    .symbol:         bluestein_single_fwd_len2016_dim1_dp_op_CI_CI.kd
    .uniform_work_group_size: 1
    .uses_dynamic_stack: false
    .vgpr_count:     256
    .vgpr_spill_count: 159
    .wavefront_size: 64
amdhsa.target:   amdgcn-amd-amdhsa--gfx906
amdhsa.version:
  - 1
  - 2
...

	.end_amdgpu_metadata
